;; amdgpu-corpus repo=ROCm/rocFFT kind=compiled arch=gfx906 opt=O3
	.text
	.amdgcn_target "amdgcn-amd-amdhsa--gfx906"
	.amdhsa_code_object_version 6
	.protected	fft_rtc_back_len1785_factors_17_3_5_7_wgs_119_tpt_119_halfLds_dp_op_CI_CI_unitstride_sbrr_dirReg ; -- Begin function fft_rtc_back_len1785_factors_17_3_5_7_wgs_119_tpt_119_halfLds_dp_op_CI_CI_unitstride_sbrr_dirReg
	.globl	fft_rtc_back_len1785_factors_17_3_5_7_wgs_119_tpt_119_halfLds_dp_op_CI_CI_unitstride_sbrr_dirReg
	.p2align	8
	.type	fft_rtc_back_len1785_factors_17_3_5_7_wgs_119_tpt_119_halfLds_dp_op_CI_CI_unitstride_sbrr_dirReg,@function
fft_rtc_back_len1785_factors_17_3_5_7_wgs_119_tpt_119_halfLds_dp_op_CI_CI_unitstride_sbrr_dirReg: ; @fft_rtc_back_len1785_factors_17_3_5_7_wgs_119_tpt_119_halfLds_dp_op_CI_CI_unitstride_sbrr_dirReg
; %bb.0:
	s_load_dwordx4 s[12:15], s[4:5], 0x58
	s_load_dwordx4 s[8:11], s[4:5], 0x0
	;; [unrolled: 1-line block ×3, first 2 shown]
	v_mul_u32_u24_e32 v1, 0x227, v0
	v_add_u32_sdwa v5, s6, v1 dst_sel:DWORD dst_unused:UNUSED_PAD src0_sel:DWORD src1_sel:WORD_1
	v_mov_b32_e32 v3, 0
	s_waitcnt lgkmcnt(0)
	v_cmp_lt_u64_e64 s[0:1], s[10:11], 2
	v_mov_b32_e32 v1, 0
	v_mov_b32_e32 v6, v3
	s_and_b64 vcc, exec, s[0:1]
	v_mov_b32_e32 v2, 0
	s_cbranch_vccnz .LBB0_8
; %bb.1:
	s_load_dwordx2 s[0:1], s[4:5], 0x10
	s_add_u32 s2, s18, 8
	s_addc_u32 s3, s19, 0
	s_add_u32 s6, s16, 8
	v_mov_b32_e32 v1, 0
	s_addc_u32 s7, s17, 0
	v_mov_b32_e32 v2, 0
	s_waitcnt lgkmcnt(0)
	s_add_u32 s20, s0, 8
	v_mov_b32_e32 v105, v2
	s_addc_u32 s21, s1, 0
	s_mov_b64 s[22:23], 1
	v_mov_b32_e32 v104, v1
.LBB0_2:                                ; =>This Inner Loop Header: Depth=1
	s_load_dwordx2 s[24:25], s[20:21], 0x0
                                        ; implicit-def: $vgpr108_vgpr109
	s_waitcnt lgkmcnt(0)
	v_or_b32_e32 v4, s25, v6
	v_cmp_ne_u64_e32 vcc, 0, v[3:4]
	s_and_saveexec_b64 s[0:1], vcc
	s_xor_b64 s[26:27], exec, s[0:1]
	s_cbranch_execz .LBB0_4
; %bb.3:                                ;   in Loop: Header=BB0_2 Depth=1
	v_cvt_f32_u32_e32 v4, s24
	v_cvt_f32_u32_e32 v7, s25
	s_sub_u32 s0, 0, s24
	s_subb_u32 s1, 0, s25
	v_mac_f32_e32 v4, 0x4f800000, v7
	v_rcp_f32_e32 v4, v4
	v_mul_f32_e32 v4, 0x5f7ffffc, v4
	v_mul_f32_e32 v7, 0x2f800000, v4
	v_trunc_f32_e32 v7, v7
	v_mac_f32_e32 v4, 0xcf800000, v7
	v_cvt_u32_f32_e32 v7, v7
	v_cvt_u32_f32_e32 v4, v4
	v_mul_lo_u32 v8, s0, v7
	v_mul_hi_u32 v9, s0, v4
	v_mul_lo_u32 v11, s1, v4
	v_mul_lo_u32 v10, s0, v4
	v_add_u32_e32 v8, v9, v8
	v_add_u32_e32 v8, v8, v11
	v_mul_hi_u32 v9, v4, v10
	v_mul_lo_u32 v11, v4, v8
	v_mul_hi_u32 v13, v4, v8
	v_mul_hi_u32 v12, v7, v10
	v_mul_lo_u32 v10, v7, v10
	v_mul_hi_u32 v14, v7, v8
	v_add_co_u32_e32 v9, vcc, v9, v11
	v_addc_co_u32_e32 v11, vcc, 0, v13, vcc
	v_mul_lo_u32 v8, v7, v8
	v_add_co_u32_e32 v9, vcc, v9, v10
	v_addc_co_u32_e32 v9, vcc, v11, v12, vcc
	v_addc_co_u32_e32 v10, vcc, 0, v14, vcc
	v_add_co_u32_e32 v8, vcc, v9, v8
	v_addc_co_u32_e32 v9, vcc, 0, v10, vcc
	v_add_co_u32_e32 v4, vcc, v4, v8
	v_addc_co_u32_e32 v7, vcc, v7, v9, vcc
	v_mul_lo_u32 v8, s0, v7
	v_mul_hi_u32 v9, s0, v4
	v_mul_lo_u32 v10, s1, v4
	v_mul_lo_u32 v11, s0, v4
	v_add_u32_e32 v8, v9, v8
	v_add_u32_e32 v8, v8, v10
	v_mul_lo_u32 v12, v4, v8
	v_mul_hi_u32 v13, v4, v11
	v_mul_hi_u32 v14, v4, v8
	v_mul_hi_u32 v10, v7, v11
	v_mul_lo_u32 v11, v7, v11
	v_mul_hi_u32 v9, v7, v8
	v_add_co_u32_e32 v12, vcc, v13, v12
	v_addc_co_u32_e32 v13, vcc, 0, v14, vcc
	v_mul_lo_u32 v8, v7, v8
	v_add_co_u32_e32 v11, vcc, v12, v11
	v_addc_co_u32_e32 v10, vcc, v13, v10, vcc
	v_addc_co_u32_e32 v9, vcc, 0, v9, vcc
	v_add_co_u32_e32 v8, vcc, v10, v8
	v_addc_co_u32_e32 v9, vcc, 0, v9, vcc
	v_add_co_u32_e32 v4, vcc, v4, v8
	v_addc_co_u32_e32 v9, vcc, v7, v9, vcc
	v_mad_u64_u32 v[7:8], s[0:1], v5, v9, 0
	v_mul_hi_u32 v10, v5, v4
	v_add_co_u32_e32 v11, vcc, v10, v7
	v_addc_co_u32_e32 v12, vcc, 0, v8, vcc
	v_mad_u64_u32 v[7:8], s[0:1], v6, v4, 0
	v_mad_u64_u32 v[9:10], s[0:1], v6, v9, 0
	v_add_co_u32_e32 v4, vcc, v11, v7
	v_addc_co_u32_e32 v4, vcc, v12, v8, vcc
	v_addc_co_u32_e32 v7, vcc, 0, v10, vcc
	v_add_co_u32_e32 v4, vcc, v4, v9
	v_addc_co_u32_e32 v9, vcc, 0, v7, vcc
	v_mul_lo_u32 v10, s25, v4
	v_mul_lo_u32 v11, s24, v9
	v_mad_u64_u32 v[7:8], s[0:1], s24, v4, 0
	v_add3_u32 v8, v8, v11, v10
	v_sub_u32_e32 v10, v6, v8
	v_mov_b32_e32 v11, s25
	v_sub_co_u32_e32 v7, vcc, v5, v7
	v_subb_co_u32_e64 v10, s[0:1], v10, v11, vcc
	v_subrev_co_u32_e64 v11, s[0:1], s24, v7
	v_subbrev_co_u32_e64 v10, s[0:1], 0, v10, s[0:1]
	v_cmp_le_u32_e64 s[0:1], s25, v10
	v_cndmask_b32_e64 v12, 0, -1, s[0:1]
	v_cmp_le_u32_e64 s[0:1], s24, v11
	v_cndmask_b32_e64 v11, 0, -1, s[0:1]
	v_cmp_eq_u32_e64 s[0:1], s25, v10
	v_cndmask_b32_e64 v10, v12, v11, s[0:1]
	v_add_co_u32_e64 v11, s[0:1], 2, v4
	v_addc_co_u32_e64 v12, s[0:1], 0, v9, s[0:1]
	v_add_co_u32_e64 v13, s[0:1], 1, v4
	v_addc_co_u32_e64 v14, s[0:1], 0, v9, s[0:1]
	v_subb_co_u32_e32 v8, vcc, v6, v8, vcc
	v_cmp_ne_u32_e64 s[0:1], 0, v10
	v_cmp_le_u32_e32 vcc, s25, v8
	v_cndmask_b32_e64 v10, v14, v12, s[0:1]
	v_cndmask_b32_e64 v12, 0, -1, vcc
	v_cmp_le_u32_e32 vcc, s24, v7
	v_cndmask_b32_e64 v7, 0, -1, vcc
	v_cmp_eq_u32_e32 vcc, s25, v8
	v_cndmask_b32_e32 v7, v12, v7, vcc
	v_cmp_ne_u32_e32 vcc, 0, v7
	v_cndmask_b32_e64 v7, v13, v11, s[0:1]
	v_cndmask_b32_e32 v109, v9, v10, vcc
	v_cndmask_b32_e32 v108, v4, v7, vcc
.LBB0_4:                                ;   in Loop: Header=BB0_2 Depth=1
	s_andn2_saveexec_b64 s[0:1], s[26:27]
	s_cbranch_execz .LBB0_6
; %bb.5:                                ;   in Loop: Header=BB0_2 Depth=1
	v_cvt_f32_u32_e32 v4, s24
	s_sub_i32 s26, 0, s24
	v_mov_b32_e32 v109, v3
	v_rcp_iflag_f32_e32 v4, v4
	v_mul_f32_e32 v4, 0x4f7ffffe, v4
	v_cvt_u32_f32_e32 v4, v4
	v_mul_lo_u32 v7, s26, v4
	v_mul_hi_u32 v7, v4, v7
	v_add_u32_e32 v4, v4, v7
	v_mul_hi_u32 v4, v5, v4
	v_mul_lo_u32 v7, v4, s24
	v_add_u32_e32 v8, 1, v4
	v_sub_u32_e32 v7, v5, v7
	v_subrev_u32_e32 v9, s24, v7
	v_cmp_le_u32_e32 vcc, s24, v7
	v_cndmask_b32_e32 v7, v7, v9, vcc
	v_cndmask_b32_e32 v4, v4, v8, vcc
	v_add_u32_e32 v8, 1, v4
	v_cmp_le_u32_e32 vcc, s24, v7
	v_cndmask_b32_e32 v108, v4, v8, vcc
.LBB0_6:                                ;   in Loop: Header=BB0_2 Depth=1
	s_or_b64 exec, exec, s[0:1]
	v_mul_lo_u32 v4, v109, s24
	v_mul_lo_u32 v9, v108, s25
	v_mad_u64_u32 v[7:8], s[0:1], v108, s24, 0
	s_load_dwordx2 s[0:1], s[6:7], 0x0
	s_load_dwordx2 s[24:25], s[2:3], 0x0
	v_add3_u32 v4, v8, v9, v4
	v_sub_co_u32_e32 v5, vcc, v5, v7
	v_subb_co_u32_e32 v4, vcc, v6, v4, vcc
	s_waitcnt lgkmcnt(0)
	v_mul_lo_u32 v6, s0, v4
	v_mul_lo_u32 v7, s1, v5
	v_mad_u64_u32 v[1:2], s[0:1], s0, v5, v[1:2]
	v_mul_lo_u32 v4, s24, v4
	v_mul_lo_u32 v8, s25, v5
	v_mad_u64_u32 v[104:105], s[0:1], s24, v5, v[104:105]
	s_add_u32 s22, s22, 1
	s_addc_u32 s23, s23, 0
	s_add_u32 s2, s2, 8
	v_add3_u32 v105, v8, v105, v4
	s_addc_u32 s3, s3, 0
	v_mov_b32_e32 v4, s10
	s_add_u32 s6, s6, 8
	v_mov_b32_e32 v5, s11
	s_addc_u32 s7, s7, 0
	v_cmp_ge_u64_e32 vcc, s[22:23], v[4:5]
	s_add_u32 s20, s20, 8
	v_add3_u32 v2, v7, v2, v6
	s_addc_u32 s21, s21, 0
	s_cbranch_vccnz .LBB0_9
; %bb.7:                                ;   in Loop: Header=BB0_2 Depth=1
	v_mov_b32_e32 v5, v108
	v_mov_b32_e32 v6, v109
	s_branch .LBB0_2
.LBB0_8:
	v_mov_b32_e32 v105, v2
	v_mov_b32_e32 v109, v6
	;; [unrolled: 1-line block ×4, first 2 shown]
.LBB0_9:
	s_load_dwordx2 s[0:1], s[4:5], 0x28
	s_mov_b32 s4, 0x226b903
	v_mul_hi_u32 v3, v0, s4
	s_lshl_b64 s[2:3], s[10:11], 3
	s_add_u32 s4, s18, s2
	s_waitcnt lgkmcnt(0)
	v_cmp_gt_u64_e32 vcc, s[0:1], v[108:109]
	v_mul_u32_u24_e32 v3, 0x77, v3
	v_sub_u32_e32 v106, v0, v3
	s_movk_i32 s0, 0x69
	v_cmp_gt_u32_e64 s[0:1], s0, v106
	s_addc_u32 s5, s19, s3
	s_and_b64 s[10:11], vcc, s[0:1]
                                        ; implicit-def: $vgpr18_vgpr19
                                        ; implicit-def: $vgpr14_vgpr15
                                        ; implicit-def: $vgpr22_vgpr23
                                        ; implicit-def: $vgpr26_vgpr27
                                        ; implicit-def: $vgpr30_vgpr31
                                        ; implicit-def: $vgpr34_vgpr35
                                        ; implicit-def: $vgpr42_vgpr43
                                        ; implicit-def: $vgpr46_vgpr47
                                        ; implicit-def: $vgpr54_vgpr55
                                        ; implicit-def: $vgpr70_vgpr71
                                        ; implicit-def: $vgpr74_vgpr75
                                        ; implicit-def: $vgpr38_vgpr39
                                        ; implicit-def: $vgpr58_vgpr59
                                        ; implicit-def: $vgpr62_vgpr63
                                        ; implicit-def: $vgpr66_vgpr67
                                        ; implicit-def: $vgpr50_vgpr51
                                        ; implicit-def: $vgpr8_vgpr9
	s_and_saveexec_b64 s[6:7], s[10:11]
	s_cbranch_execz .LBB0_11
; %bb.10:
	s_add_u32 s2, s16, s2
	s_addc_u32 s3, s17, s3
	s_load_dwordx2 s[2:3], s[2:3], 0x0
	v_mov_b32_e32 v6, s13
	v_mov_b32_e32 v107, 0
	s_waitcnt lgkmcnt(0)
	v_mul_lo_u32 v0, s3, v108
	v_mul_lo_u32 v5, s2, v109
	v_mad_u64_u32 v[3:4], s[2:3], s2, v108, 0
	v_add3_u32 v4, v4, v5, v0
	v_lshlrev_b64 v[3:4], 4, v[3:4]
	v_lshlrev_b64 v[0:1], 4, v[1:2]
	v_add_co_u32_e64 v3, s[2:3], s12, v3
	v_addc_co_u32_e64 v4, s[2:3], v6, v4, s[2:3]
	v_add_co_u32_e64 v2, s[2:3], v3, v0
	v_addc_co_u32_e64 v3, s[2:3], v4, v1, s[2:3]
	v_lshlrev_b64 v[0:1], 4, v[106:107]
	v_add_co_u32_e64 v0, s[2:3], v2, v0
	v_addc_co_u32_e64 v1, s[2:3], v3, v1, s[2:3]
	s_movk_i32 s2, 0x1000
	v_add_co_u32_e64 v2, s[2:3], s2, v0
	v_addc_co_u32_e64 v3, s[2:3], 0, v1, s[2:3]
	s_movk_i32 s2, 0x2000
	;; [unrolled: 3-line block ×3, first 2 shown]
	global_load_dwordx4 v[6:9], v[0:1], off
	global_load_dwordx4 v[48:51], v[0:1], off offset:1680
	global_load_dwordx4 v[64:67], v[0:1], off offset:3360
	;; [unrolled: 1-line block ×5, first 2 shown]
	v_add_co_u32_e64 v2, s[2:3], s2, v0
	v_addc_co_u32_e64 v3, s[2:3], 0, v1, s[2:3]
	s_movk_i32 s2, 0x4000
	v_add_co_u32_e64 v10, s[2:3], s2, v0
	v_addc_co_u32_e64 v11, s[2:3], 0, v1, s[2:3]
	s_movk_i32 s2, 0x5000
	;; [unrolled: 3-line block ×3, first 2 shown]
	v_add_co_u32_e64 v0, s[2:3], s2, v0
	v_addc_co_u32_e64 v1, s[2:3], 0, v1, s[2:3]
	global_load_dwordx4 v[72:75], v[4:5], off offset:1888
	global_load_dwordx4 v[68:71], v[4:5], off offset:3568
	;; [unrolled: 1-line block ×11, first 2 shown]
.LBB0_11:
	s_or_b64 exec, exec, s[6:7]
	s_waitcnt vmcnt(0)
	v_add_f64 v[0:1], v[50:51], -v[18:19]
	s_mov_b32 s22, 0x5d8e7cdc
	s_mov_b32 s23, 0xbfd71e95
	v_add_f64 v[10:11], v[16:17], v[48:49]
	v_add_f64 v[76:77], v[66:67], -v[14:15]
	s_mov_b32 s2, 0x370991
	s_mov_b32 s28, 0x2a9d6da3
	;; [unrolled: 1-line block ×3, first 2 shown]
	v_mul_f64 v[78:79], v[0:1], s[22:23]
	s_mov_b32 s29, 0xbfe58eea
	v_mul_f64 v[82:83], v[0:1], s[28:29]
	v_add_f64 v[86:87], v[12:13], v[64:65]
	v_mul_f64 v[80:81], v[76:77], s[28:29]
	s_mov_b32 s6, 0x75d4884
	s_mov_b32 s20, 0xeb564b22
	;; [unrolled: 1-line block ×3, first 2 shown]
	v_fma_f64 v[2:3], v[10:11], s[2:3], -v[78:79]
	s_mov_b32 s21, 0xbfefdd0d
	v_mul_f64 v[84:85], v[76:77], s[20:21]
	v_fma_f64 v[4:5], v[10:11], s[6:7], -v[82:83]
	v_add_f64 v[88:89], v[62:63], -v[22:23]
	v_fma_f64 v[92:93], v[86:87], s[6:7], -v[80:81]
	s_mov_b32 s10, 0x3259b75e
	s_mov_b32 s36, 0x7c9e640b
	v_add_f64 v[2:3], v[6:7], v[2:3]
	s_mov_b32 s30, 0x6c9a05f6
	s_mov_b32 s11, 0x3fb79ee6
	;; [unrolled: 1-line block ×4, first 2 shown]
	v_fma_f64 v[96:97], v[86:87], s[10:11], -v[84:85]
	v_add_f64 v[4:5], v[6:7], v[4:5]
	v_add_f64 v[94:95], v[20:21], v[60:61]
	v_mul_f64 v[90:91], v[88:89], s[36:37]
	v_add_f64 v[2:3], v[92:93], v[2:3]
	v_add_f64 v[92:93], v[58:59], -v[26:27]
	v_mul_f64 v[98:99], v[88:89], s[30:31]
	s_mov_b32 s12, 0x2b2883cd
	s_mov_b32 s16, 0x6ed5f1bb
	;; [unrolled: 1-line block ×4, first 2 shown]
	v_add_f64 v[4:5], v[96:97], v[4:5]
	v_fma_f64 v[100:101], v[94:95], s[12:13], -v[90:91]
	v_add_f64 v[112:113], v[24:25], v[56:57]
	v_mul_f64 v[96:97], v[92:93], s[20:21]
	v_fma_f64 v[102:103], v[94:95], s[16:17], -v[98:99]
	s_mov_b32 s34, 0xacd6c6b4
	s_mov_b32 s35, 0xbfc7851a
	;; [unrolled: 1-line block ×4, first 2 shown]
	v_add_f64 v[2:3], v[100:101], v[2:3]
	v_add_f64 v[100:101], v[38:39], -v[30:31]
	v_fma_f64 v[110:111], v[112:113], s[10:11], -v[96:97]
	v_add_f64 v[4:5], v[102:103], v[4:5]
	v_mul_f64 v[102:103], v[92:93], s[34:35]
	s_mov_b32 s40, 0x4363dd80
	s_mov_b32 s39, 0xbfeec746
	;; [unrolled: 1-line block ×4, first 2 shown]
	v_add_f64 v[126:127], v[28:29], v[36:37]
	v_add_f64 v[2:3], v[110:111], v[2:3]
	v_mul_f64 v[110:111], v[100:101], s[38:39]
	v_fma_f64 v[118:119], v[112:113], s[18:19], -v[102:103]
	v_mul_f64 v[114:115], v[100:101], s[40:41]
	v_add_f64 v[116:117], v[74:75], -v[34:35]
	s_mov_b32 s24, 0xc61f0d01
	s_mov_b32 s26, 0x910ea3b9
	;; [unrolled: 1-line block ×6, first 2 shown]
	v_fma_f64 v[124:125], v[126:127], s[24:25], -v[110:111]
	v_add_f64 v[4:5], v[118:119], v[4:5]
	v_fma_f64 v[128:129], v[126:127], s[26:27], -v[114:115]
	v_add_f64 v[136:137], v[32:33], v[72:73]
	v_mul_f64 v[118:119], v[116:117], s[30:31]
	v_mul_f64 v[120:121], v[116:117], s[42:43]
	v_add_f64 v[122:123], v[70:71], -v[42:43]
	s_mov_b32 s45, 0xbfe0d888
	s_mov_b32 s44, s40
	;; [unrolled: 1-line block ×4, first 2 shown]
	v_add_f64 v[2:3], v[124:125], v[2:3]
	v_add_f64 v[4:5], v[128:129], v[4:5]
	v_fma_f64 v[132:133], v[136:137], s[16:17], -v[118:119]
	v_fma_f64 v[134:135], v[136:137], s[24:25], -v[120:121]
	v_add_f64 v[138:139], v[40:41], v[68:69]
	v_mul_f64 v[128:129], v[122:123], s[44:45]
	v_mul_f64 v[130:131], v[122:123], s[46:47]
	v_add_f64 v[124:125], v[54:55], -v[46:47]
	s_mov_b32 s49, 0x3fd71e95
	s_mov_b32 s48, s22
	v_add_f64 v[2:3], v[132:133], v[2:3]
	v_add_f64 v[4:5], v[134:135], v[4:5]
	;; [unrolled: 1-line block ×3, first 2 shown]
	v_fma_f64 v[142:143], v[138:139], s[26:27], -v[128:129]
	v_fma_f64 v[144:145], v[138:139], s[12:13], -v[130:131]
	v_mul_f64 v[132:133], v[124:125], s[34:35]
	v_mul_f64 v[134:135], v[124:125], s[48:49]
	v_add_f64 v[2:3], v[142:143], v[2:3]
	v_add_f64 v[142:143], v[144:145], v[4:5]
	v_fma_f64 v[4:5], v[140:141], s[18:19], -v[132:133]
	v_fma_f64 v[144:145], v[140:141], s[2:3], -v[134:135]
	v_add_f64 v[4:5], v[4:5], v[2:3]
	v_add_f64 v[2:3], v[144:145], v[142:143]
	s_and_saveexec_b64 s[50:51], s[0:1]
	s_cbranch_execz .LBB0_13
; %bb.12:
	v_mul_f64 v[166:167], v[10:11], s[18:19]
	s_mov_b32 s53, 0x3fc7851a
	s_mov_b32 s52, s34
	v_mul_f64 v[174:175], v[86:87], s[2:3]
	v_mul_f64 v[176:177], v[94:95], s[26:27]
	;; [unrolled: 1-line block ×5, first 2 shown]
	v_fma_f64 v[142:143], v[0:1], s[52:53], v[166:167]
	v_fma_f64 v[166:167], v[0:1], s[34:35], v[166:167]
	s_mov_b32 s57, 0x3fe9895b
	v_fma_f64 v[178:179], v[76:77], s[22:23], v[174:175]
	v_fma_f64 v[182:183], v[88:89], s[40:41], v[176:177]
	;; [unrolled: 1-line block ×5, first 2 shown]
	v_add_f64 v[142:143], v[6:7], v[142:143]
	v_add_f64 v[166:167], v[6:7], v[166:167]
	v_fma_f64 v[176:177], v[88:89], s[44:45], v[176:177]
	s_mov_b32 s56, s30
	s_mov_b32 s59, 0x3fefdd0d
	;; [unrolled: 1-line block ×4, first 2 shown]
	v_add_f64 v[194:195], v[6:7], v[194:195]
	v_add_f64 v[178:179], v[178:179], v[142:143]
	;; [unrolled: 1-line block ×3, first 2 shown]
	s_mov_b32 s54, s28
	v_mul_f64 v[186:187], v[136:137], s[12:13]
	v_fma_f64 v[196:197], v[100:101], s[56:57], v[188:189]
	v_fma_f64 v[174:175], v[92:93], s[54:55], v[180:181]
	v_mul_f64 v[180:181], v[112:113], s[16:17]
	v_mul_f64 v[184:185], v[138:139], s[24:25]
	v_add_f64 v[178:179], v[182:183], v[178:179]
	v_mul_f64 v[182:183], v[86:87], s[12:13]
	v_add_f64 v[166:167], v[176:177], v[166:167]
	v_fma_f64 v[176:177], v[116:117], s[36:37], v[186:187]
	v_fma_f64 v[188:189], v[100:101], s[30:31], v[188:189]
	;; [unrolled: 1-line block ×5, first 2 shown]
	v_add_f64 v[178:179], v[192:193], v[178:179]
	v_mul_f64 v[192:193], v[94:95], s[10:11]
	v_fma_f64 v[198:199], v[76:77], s[36:37], v[182:183]
	v_add_f64 v[166:167], v[174:175], v[166:167]
	v_fma_f64 v[174:175], v[122:123], s[42:43], v[184:185]
	v_fma_f64 v[184:185], v[122:123], s[38:39], v[184:185]
	v_mul_f64 v[206:207], v[10:11], s[16:17]
	v_fma_f64 v[182:183], v[76:77], s[46:47], v[182:183]
	v_add_f64 v[178:179], v[196:197], v[178:179]
	v_fma_f64 v[200:201], v[88:89], s[58:59], v[192:193]
	v_add_f64 v[194:195], v[198:199], v[194:195]
	v_mul_f64 v[198:199], v[126:127], s[2:3]
	v_mul_f64 v[196:197], v[140:141], s[10:11]
	v_add_f64 v[166:167], v[188:189], v[166:167]
	v_add_f64 v[190:191], v[6:7], v[190:191]
	v_fma_f64 v[192:193], v[88:89], s[20:21], v[192:193]
	v_add_f64 v[176:177], v[176:177], v[178:179]
	v_fma_f64 v[180:181], v[92:93], s[56:57], v[180:181]
	v_add_f64 v[194:195], v[200:201], v[194:195]
	v_mul_f64 v[200:201], v[136:137], s[18:19]
	v_fma_f64 v[204:205], v[100:101], s[48:49], v[198:199]
	v_fma_f64 v[188:189], v[124:125], s[20:21], v[196:197]
	v_add_f64 v[166:167], v[186:187], v[166:167]
	v_fma_f64 v[186:187], v[124:125], s[58:59], v[196:197]
	v_add_f64 v[174:175], v[174:175], v[176:177]
	v_mul_f64 v[176:177], v[138:139], s[6:7]
	v_add_f64 v[194:195], v[202:203], v[194:195]
	v_fma_f64 v[202:203], v[116:117], s[52:53], v[200:201]
	v_mul_f64 v[196:197], v[140:141], s[24:25]
	v_add_f64 v[182:183], v[182:183], v[190:191]
	v_add_f64 v[166:167], v[184:185], v[166:167]
	v_mul_f64 v[208:209], v[94:95], s[6:7]
	v_add_f64 v[174:175], v[188:189], v[174:175]
	v_mul_f64 v[188:189], v[86:87], s[24:25]
	v_add_f64 v[194:195], v[204:205], v[194:195]
	v_fma_f64 v[204:205], v[122:123], s[28:29], v[176:177]
	v_fma_f64 v[184:185], v[124:125], s[42:43], v[196:197]
	v_add_f64 v[182:183], v[192:193], v[182:183]
	v_add_f64 v[166:167], v[186:187], v[166:167]
	v_mul_f64 v[186:187], v[94:95], s[2:3]
	v_mul_f64 v[192:193], v[112:113], s[26:27]
	v_fma_f64 v[176:177], v[122:123], s[54:55], v[176:177]
	v_add_f64 v[194:195], v[202:203], v[194:195]
	v_fma_f64 v[202:203], v[0:1], s[56:57], v[206:207]
	v_add_f64 v[214:215], v[48:49], v[6:7]
	v_add_f64 v[180:181], v[180:181], v[182:183]
	v_fma_f64 v[182:183], v[124:125], s[38:39], v[196:197]
	v_fma_f64 v[196:197], v[116:117], s[34:35], v[200:201]
	v_mul_f64 v[200:201], v[126:127], s[10:11]
	v_mul_f64 v[168:169], v[10:11], s[2:3]
	v_add_f64 v[190:191], v[204:205], v[194:195]
	v_fma_f64 v[194:195], v[76:77], s[38:39], v[188:189]
	v_fma_f64 v[204:205], v[0:1], s[30:31], v[206:207]
	v_add_f64 v[202:203], v[6:7], v[202:203]
	v_fma_f64 v[188:189], v[76:77], s[42:43], v[188:189]
	v_mul_f64 v[170:171], v[10:11], s[6:7]
	v_mul_f64 v[162:163], v[86:87], s[6:7]
	;; [unrolled: 1-line block ×3, first 2 shown]
	v_add_f64 v[184:185], v[184:185], v[190:191]
	v_fma_f64 v[190:191], v[100:101], s[22:23], v[198:199]
	v_fma_f64 v[198:199], v[88:89], s[48:49], v[186:187]
	v_add_f64 v[204:205], v[6:7], v[204:205]
	v_add_f64 v[194:195], v[194:195], v[202:203]
	v_fma_f64 v[202:203], v[92:93], s[40:41], v[192:193]
	v_fma_f64 v[186:187], v[88:89], s[22:23], v[186:187]
	;; [unrolled: 1-line block ×3, first 2 shown]
	v_add_f64 v[78:79], v[78:79], v[168:169]
	v_add_f64 v[180:181], v[190:191], v[180:181]
	v_mul_f64 v[190:191], v[136:137], s[6:7]
	v_add_f64 v[188:189], v[188:189], v[204:205]
	v_add_f64 v[194:195], v[198:199], v[194:195]
	v_fma_f64 v[198:199], v[100:101], s[20:21], v[200:201]
	v_mul_f64 v[204:205], v[10:11], s[24:25]
	v_fma_f64 v[200:201], v[100:101], s[58:59], v[200:201]
	v_add_f64 v[82:83], v[82:83], v[170:171]
	v_add_f64 v[180:181], v[196:197], v[180:181]
	v_fma_f64 v[196:197], v[116:117], s[54:55], v[190:191]
	v_add_f64 v[186:187], v[186:187], v[188:189]
	v_add_f64 v[188:189], v[202:203], v[194:195]
	v_mul_f64 v[194:195], v[138:139], s[18:19]
	v_mul_f64 v[202:203], v[86:87], s[26:27]
	v_fma_f64 v[206:207], v[0:1], s[42:43], v[204:205]
	v_fma_f64 v[190:191], v[116:117], s[28:29], v[190:191]
	v_add_f64 v[176:177], v[176:177], v[180:181]
	v_mul_f64 v[160:161], v[94:95], s[12:13]
	v_add_f64 v[186:187], v[192:193], v[186:187]
	v_add_f64 v[188:189], v[198:199], v[188:189]
	v_mul_f64 v[192:193], v[140:141], s[12:13]
	v_fma_f64 v[198:199], v[122:123], s[52:53], v[194:195]
	v_fma_f64 v[210:211], v[76:77], s[44:45], v[202:203]
	v_add_f64 v[206:207], v[6:7], v[206:207]
	v_fma_f64 v[194:195], v[122:123], s[34:35], v[194:195]
	v_add_f64 v[176:177], v[182:183], v[176:177]
	v_add_f64 v[186:187], v[200:201], v[186:187]
	;; [unrolled: 1-line block ×3, first 2 shown]
	v_fma_f64 v[180:181], v[124:125], s[36:37], v[192:193]
	v_mul_f64 v[196:197], v[112:113], s[12:13]
	v_fma_f64 v[200:201], v[88:89], s[28:29], v[208:209]
	v_add_f64 v[206:207], v[210:211], v[206:207]
	v_fma_f64 v[182:183], v[0:1], s[38:39], v[204:205]
	v_fma_f64 v[192:193], v[124:125], s[46:47], v[192:193]
	v_add_f64 v[186:187], v[190:191], v[186:187]
	v_add_f64 v[188:189], v[198:199], v[188:189]
	v_mul_f64 v[190:191], v[126:127], s[18:19]
	v_fma_f64 v[198:199], v[92:93], s[46:47], v[196:197]
	v_mul_f64 v[204:205], v[10:11], s[10:11]
	v_add_f64 v[200:201], v[200:201], v[206:207]
	v_add_f64 v[182:183], v[6:7], v[182:183]
	v_fma_f64 v[196:197], v[92:93], s[36:37], v[196:197]
	v_add_f64 v[186:187], v[194:195], v[186:187]
	v_add_f64 v[180:181], v[180:181], v[188:189]
	v_fma_f64 v[188:189], v[76:77], s[40:41], v[202:203]
	v_mul_f64 v[194:195], v[136:137], s[10:11]
	v_fma_f64 v[202:203], v[100:101], s[52:53], v[190:191]
	v_add_f64 v[198:199], v[198:199], v[200:201]
	v_fma_f64 v[210:211], v[0:1], s[58:59], v[204:205]
	v_fma_f64 v[204:205], v[0:1], s[20:21], v[204:205]
	v_add_f64 v[186:187], v[192:193], v[186:187]
	v_fma_f64 v[192:193], v[88:89], s[54:55], v[208:209]
	v_add_f64 v[182:183], v[188:189], v[182:183]
	v_fma_f64 v[206:207], v[116:117], s[20:21], v[194:195]
	v_mul_f64 v[208:209], v[86:87], s[18:19]
	v_add_f64 v[198:199], v[202:203], v[198:199]
	v_fma_f64 v[190:191], v[100:101], s[34:35], v[190:191]
	v_mul_f64 v[188:189], v[138:139], s[2:3]
	v_add_f64 v[204:205], v[6:7], v[204:205]
	v_fma_f64 v[194:195], v[116:117], s[58:59], v[194:195]
	v_add_f64 v[182:183], v[192:193], v[182:183]
	v_mul_f64 v[200:201], v[140:141], s[16:17]
	v_fma_f64 v[212:213], v[76:77], s[52:53], v[208:209]
	v_add_f64 v[198:199], v[206:207], v[198:199]
	v_mul_f64 v[206:207], v[94:95], s[24:25]
	v_fma_f64 v[192:193], v[122:123], s[48:49], v[188:189]
	v_fma_f64 v[188:189], v[122:123], s[22:23], v[188:189]
	v_add_f64 v[210:211], v[6:7], v[210:211]
	v_add_f64 v[182:183], v[196:197], v[182:183]
	v_fma_f64 v[196:197], v[76:77], s[34:35], v[208:209]
	v_mul_f64 v[10:11], v[10:11], s[12:13]
	v_mul_f64 v[208:209], v[112:113], s[2:3]
	v_fma_f64 v[216:217], v[88:89], s[38:39], v[206:207]
	v_mul_f64 v[86:87], v[86:87], s[16:17]
	v_mul_f64 v[164:165], v[94:95], s[16:17]
	v_add_f64 v[210:211], v[212:213], v[210:211]
	v_add_f64 v[182:183], v[190:191], v[182:183]
	v_fma_f64 v[190:191], v[88:89], s[42:43], v[206:207]
	v_add_f64 v[206:207], v[64:65], v[214:215]
	v_add_f64 v[196:197], v[196:197], v[204:205]
	v_fma_f64 v[214:215], v[0:1], s[36:37], v[10:11]
	v_mul_f64 v[204:205], v[126:127], s[12:13]
	v_fma_f64 v[212:213], v[92:93], s[22:23], v[208:209]
	v_add_f64 v[210:211], v[216:217], v[210:211]
	v_add_f64 v[182:183], v[194:195], v[182:183]
	v_fma_f64 v[0:1], v[0:1], s[46:47], v[10:11]
	v_add_f64 v[206:207], v[60:61], v[206:207]
	v_add_f64 v[190:191], v[190:191], v[196:197]
	v_fma_f64 v[196:197], v[124:125], s[30:31], v[200:201]
	v_mul_f64 v[94:95], v[94:95], s[18:19]
	v_fma_f64 v[218:219], v[76:77], s[56:57], v[86:87]
	v_fma_f64 v[10:11], v[76:77], s[30:31], v[86:87]
	v_add_f64 v[182:183], v[188:189], v[182:183]
	v_add_f64 v[80:81], v[80:81], v[162:163]
	;; [unrolled: 1-line block ×7, first 2 shown]
	v_fma_f64 v[202:203], v[124:125], s[56:57], v[200:201]
	v_add_f64 v[182:183], v[196:197], v[182:183]
	v_fma_f64 v[194:195], v[92:93], s[48:49], v[208:209]
	v_add_f64 v[196:197], v[36:37], v[206:207]
	v_mul_f64 v[200:201], v[136:137], s[26:27]
	v_fma_f64 v[208:209], v[100:101], s[46:47], v[204:205]
	v_add_f64 v[210:211], v[212:213], v[210:211]
	v_add_f64 v[0:1], v[6:7], v[0:1]
	v_mul_f64 v[156:157], v[112:113], s[10:11]
	v_fma_f64 v[216:217], v[88:89], s[34:35], v[94:95]
	v_fma_f64 v[6:7], v[88:89], s[52:53], v[94:95]
	v_add_f64 v[196:197], v[72:73], v[196:197]
	v_add_f64 v[88:89], v[90:91], v[160:161]
	;; [unrolled: 1-line block ×3, first 2 shown]
	v_mul_f64 v[158:159], v[112:113], s[18:19]
	v_mul_f64 v[112:113], v[112:113], s[24:25]
	v_add_f64 v[10:11], v[10:11], v[76:77]
	v_add_f64 v[76:77], v[98:99], v[164:165]
	v_add_f64 v[82:83], v[84:85], v[82:83]
	v_add_f64 v[196:197], v[68:69], v[196:197]
	v_fma_f64 v[212:213], v[116:117], s[40:41], v[200:201]
	v_add_f64 v[208:209], v[208:209], v[210:211]
	v_add_f64 v[0:1], v[218:219], v[0:1]
	v_mul_f64 v[152:153], v[126:127], s[24:25]
	v_add_f64 v[78:79], v[88:89], v[78:79]
	v_mul_f64 v[154:155], v[126:127], s[26:27]
	v_mul_f64 v[126:127], v[126:127], s[6:7]
	v_add_f64 v[168:169], v[52:53], v[196:197]
	v_fma_f64 v[84:85], v[92:93], s[42:43], v[112:113]
	v_add_f64 v[6:7], v[6:7], v[10:11]
	v_add_f64 v[10:11], v[102:103], v[158:159]
	;; [unrolled: 1-line block ×4, first 2 shown]
	v_fma_f64 v[212:213], v[92:93], s[38:39], v[112:113]
	v_add_f64 v[0:1], v[216:217], v[0:1]
	v_add_f64 v[86:87], v[44:45], v[168:169]
	v_mul_f64 v[148:149], v[136:137], s[16:17]
	v_add_f64 v[88:89], v[110:111], v[152:153]
	v_mul_f64 v[150:151], v[136:137], s[24:25]
	v_mul_f64 v[136:137], v[136:137], s[2:3]
	v_fma_f64 v[82:83], v[100:101], s[54:55], v[126:127]
	v_add_f64 v[6:7], v[84:85], v[6:7]
	v_add_f64 v[84:85], v[114:115], v[154:155]
	;; [unrolled: 1-line block ×5, first 2 shown]
	v_fma_f64 v[188:189], v[100:101], s[36:37], v[204:205]
	v_add_f64 v[190:191], v[194:195], v[190:191]
	v_fma_f64 v[210:211], v[100:101], s[28:29], v[126:127]
	v_add_f64 v[0:1], v[212:213], v[0:1]
	v_mul_f64 v[144:145], v[138:139], s[26:27]
	v_add_f64 v[80:81], v[32:33], v[80:81]
	v_add_f64 v[78:79], v[86:87], v[78:79]
	;; [unrolled: 1-line block ×3, first 2 shown]
	v_mul_f64 v[146:147], v[138:139], s[12:13]
	v_mul_f64 v[204:205], v[138:139], s[16:17]
	;; [unrolled: 1-line block ×3, first 2 shown]
	v_fma_f64 v[76:77], v[116:117], s[22:23], v[136:137]
	v_add_f64 v[6:7], v[82:83], v[6:7]
	v_add_f64 v[80:81], v[28:29], v[80:81]
	;; [unrolled: 1-line block ×6, first 2 shown]
	v_fma_f64 v[198:199], v[116:117], s[44:45], v[200:201]
	v_add_f64 v[188:189], v[188:189], v[190:191]
	v_fma_f64 v[208:209], v[116:117], s[48:49], v[136:137]
	v_add_f64 v[80:81], v[24:25], v[80:81]
	v_add_f64 v[0:1], v[210:211], v[0:1]
	v_mul_f64 v[142:143], v[140:141], s[18:19]
	v_add_f64 v[88:89], v[128:129], v[144:145]
	v_add_f64 v[78:79], v[86:87], v[78:79]
	v_mul_f64 v[178:179], v[140:141], s[2:3]
	v_mul_f64 v[194:195], v[140:141], s[6:7]
	;; [unrolled: 1-line block ×3, first 2 shown]
	v_add_f64 v[80:81], v[20:21], v[80:81]
	v_fma_f64 v[84:85], v[122:123], s[20:21], v[138:139]
	v_add_f64 v[6:7], v[76:77], v[6:7]
	v_add_f64 v[76:77], v[130:131], v[146:147]
	;; [unrolled: 1-line block ×3, first 2 shown]
	v_fma_f64 v[200:201], v[122:123], s[30:31], v[204:205]
	v_fma_f64 v[204:205], v[122:123], s[56:57], v[204:205]
	v_add_f64 v[188:189], v[198:199], v[188:189]
	v_fma_f64 v[198:199], v[122:123], s[58:59], v[138:139]
	v_add_f64 v[0:1], v[208:209], v[0:1]
	v_add_f64 v[86:87], v[132:133], v[142:143]
	v_add_f64 v[78:79], v[88:89], v[78:79]
	v_add_f64 v[80:81], v[12:13], v[80:81]
	v_fma_f64 v[82:83], v[124:125], s[44:45], v[140:141]
	v_add_f64 v[6:7], v[84:85], v[6:7]
	v_add_f64 v[84:85], v[134:135], v[178:179]
	;; [unrolled: 1-line block ×3, first 2 shown]
	v_fma_f64 v[190:191], v[124:125], s[28:29], v[194:195]
	v_fma_f64 v[194:195], v[124:125], s[54:55], v[194:195]
	v_add_f64 v[76:77], v[204:205], v[188:189]
	v_add_f64 v[88:89], v[200:201], v[206:207]
	v_fma_f64 v[90:91], v[124:125], s[40:41], v[140:141]
	v_add_f64 v[0:1], v[198:199], v[0:1]
	v_add_f64 v[78:79], v[86:87], v[78:79]
	;; [unrolled: 1-line block ×8, first 2 shown]
	s_movk_i32 s33, 0x88
	v_add_f64 v[0:1], v[90:91], v[0:1]
	v_mad_u32_u24 v86, v106, s33, 0
	ds_write2_b64 v86, v[80:81], v[78:79] offset1:1
	ds_write2_b64 v86, v[10:11], v[6:7] offset0:2 offset1:3
	ds_write2_b64 v86, v[76:77], v[182:183] offset0:4 offset1:5
	;; [unrolled: 1-line block ×7, first 2 shown]
	ds_write_b64 v86, v[4:5] offset:128
.LBB0_13:
	s_or_b64 exec, exec, s[50:51]
	v_add_f64 v[138:139], v[48:49], -v[16:17]
	v_add_f64 v[132:133], v[18:19], v[50:51]
	v_add_f64 v[126:127], v[64:65], -v[12:13]
	v_add_f64 v[124:125], v[14:15], v[66:67]
	;; [unrolled: 2-line block ×4, first 2 shown]
	v_mul_f64 v[134:135], v[138:139], s[22:23]
	v_mul_f64 v[136:137], v[138:139], s[28:29]
	;; [unrolled: 1-line block ×6, first 2 shown]
	v_add_f64 v[60:61], v[36:37], -v[28:29]
	v_mul_f64 v[120:121], v[112:113], s[20:21]
	v_fma_f64 v[0:1], v[132:133], s[2:3], v[134:135]
	v_fma_f64 v[6:7], v[132:133], s[6:7], v[136:137]
	;; [unrolled: 1-line block ×4, first 2 shown]
	v_mul_f64 v[122:123], v[112:113], s[34:35]
	v_fma_f64 v[16:17], v[116:117], s[12:13], v[128:129]
	v_fma_f64 v[28:29], v[116:117], s[16:17], v[130:131]
	v_add_f64 v[56:57], v[30:31], v[38:39]
	v_add_f64 v[0:1], v[8:9], v[0:1]
	v_add_f64 v[6:7], v[8:9], v[6:7]
	v_add_f64 v[48:49], v[72:73], -v[32:33]
	v_mul_f64 v[114:115], v[60:61], s[38:39]
	v_mul_f64 v[72:73], v[60:61], s[40:41]
	v_add_f64 v[36:37], v[34:35], v[74:75]
	v_add_f64 v[24:25], v[68:69], -v[40:41]
	v_add_f64 v[20:21], v[42:43], v[70:71]
	v_add_f64 v[0:1], v[10:11], v[0:1]
	;; [unrolled: 1-line block ×3, first 2 shown]
	v_fma_f64 v[10:11], v[110:111], s[10:11], v[120:121]
	v_fma_f64 v[12:13], v[110:111], s[18:19], v[122:123]
	v_mul_f64 v[64:65], v[48:49], s[30:31]
	v_mul_f64 v[68:69], v[48:49], s[42:43]
	v_fma_f64 v[32:33], v[56:57], s[24:25], v[114:115]
	v_mul_f64 v[40:41], v[24:25], s[46:47]
	v_add_f64 v[0:1], v[16:17], v[0:1]
	v_add_f64 v[28:29], v[28:29], v[6:7]
	v_add_f64 v[16:17], v[52:53], -v[44:45]
	v_fma_f64 v[52:53], v[56:57], s[26:27], v[72:73]
	v_mul_f64 v[44:45], v[24:25], s[44:45]
	v_fma_f64 v[76:77], v[36:37], s[24:25], v[68:69]
	v_add_f64 v[6:7], v[46:47], v[54:55]
	v_fma_f64 v[78:79], v[20:21], s[12:13], v[40:41]
	v_add_f64 v[0:1], v[10:11], v[0:1]
	v_add_f64 v[10:11], v[12:13], v[28:29]
	v_fma_f64 v[12:13], v[36:37], s[16:17], v[64:65]
	v_mul_f64 v[28:29], v[16:17], s[34:35]
	v_lshl_add_u32 v107, v106, 3, 0
	v_add_u32_e32 v145, 0xc00, v107
	s_waitcnt lgkmcnt(0)
	s_barrier
	v_add_f64 v[0:1], v[32:33], v[0:1]
	v_add_f64 v[10:11], v[52:53], v[10:11]
	v_mul_f64 v[32:33], v[16:17], s[48:49]
	v_fma_f64 v[52:53], v[20:21], s[26:27], v[44:45]
	ds_read2_b64 v[84:87], v107 offset1:119
	v_add_u32_e32 v144, 0x2400, v107
	v_add_u32_e32 v146, 0x1400, v107
	v_add_f64 v[0:1], v[12:13], v[0:1]
	v_add_f64 v[10:11], v[76:77], v[10:11]
	v_fma_f64 v[12:13], v[6:7], s[18:19], v[28:29]
	v_fma_f64 v[88:89], v[6:7], s[2:3], v[32:33]
	v_add_u32_e32 v148, 0x400, v107
	v_add_u32_e32 v147, 0x2c00, v107
	;; [unrolled: 1-line block ×3, first 2 shown]
	v_add_f64 v[0:1], v[52:53], v[0:1]
	v_add_f64 v[10:11], v[78:79], v[10:11]
	ds_read2_b64 v[76:79], v145 offset0:92 offset1:211
	ds_read2_b64 v[100:103], v144 offset0:38 offset1:157
	;; [unrolled: 1-line block ×5, first 2 shown]
	v_add_f64 v[12:13], v[12:13], v[0:1]
	v_add_f64 v[10:11], v[88:89], v[10:11]
	ds_read2_b64 v[88:91], v149 offset0:56 offset1:175
	ds_read_b64 v[0:1], v107 offset:13328
	s_waitcnt lgkmcnt(0)
	s_barrier
	s_and_saveexec_b64 s[20:21], s[0:1]
	s_cbranch_execz .LBB0_15
; %bb.14:
	v_add_f64 v[50:51], v[50:51], v[8:9]
	v_mul_f64 v[158:159], v[116:117], s[16:17]
	v_mul_f64 v[168:169], v[36:37], s[16:17]
	s_mov_b32 s16, 0x6c9a05f6
	s_mov_b32 s17, 0xbfe9895b
	v_mul_f64 v[156:157], v[124:125], s[10:11]
	v_mul_f64 v[160:161], v[110:111], s[10:11]
	s_mov_b32 s34, 0x7c9e640b
	v_add_f64 v[50:51], v[66:67], v[50:51]
	v_mul_f64 v[66:67], v[116:117], s[12:13]
	s_mov_b32 s10, 0x6ed5f1bb
	s_mov_b32 s35, 0xbfeca52d
	;; [unrolled: 1-line block ×4, first 2 shown]
	v_mul_f64 v[150:151], v[132:133], s[2:3]
	v_mul_f64 v[152:153], v[132:133], s[6:7]
	v_add_f64 v[170:171], v[62:63], v[50:51]
	v_mul_f64 v[62:63], v[20:21], s[12:13]
	s_mov_b32 s12, 0x923c349f
	s_mov_b32 s13, 0xbfeec746
	;; [unrolled: 1-line block ×3, first 2 shown]
	v_mul_f64 v[182:183], v[126:127], s[44:45]
	v_add_f64 v[142:143], v[156:157], -v[142:143]
	v_mul_f64 v[154:155], v[124:125], s[6:7]
	v_add_f64 v[58:59], v[58:59], v[170:171]
	v_mul_f64 v[170:171], v[138:139], s[16:17]
	v_mul_f64 v[164:165], v[56:57], s[24:25]
	v_mul_f64 v[172:173], v[36:37], s[24:25]
	s_mov_b32 s0, 0x2b2883cd
	s_mov_b32 s24, 0xeb564b22
	;; [unrolled: 1-line block ×4, first 2 shown]
	v_add_f64 v[38:39], v[38:39], v[58:59]
	v_mul_f64 v[58:59], v[138:139], s[34:35]
	v_fma_f64 v[156:157], v[132:133], s[10:11], v[170:171]
	s_mov_b32 s30, 0xacd6c6b4
	s_mov_b32 s1, 0x3fdc86fa
	;; [unrolled: 1-line block ×5, first 2 shown]
	v_add_f64 v[38:39], v[74:75], v[38:39]
	s_mov_b32 s31, 0xbfc7851a
	v_mul_f64 v[74:75], v[138:139], s[12:13]
	v_mul_f64 v[176:177], v[138:139], s[22:23]
	v_add_f64 v[134:135], v[150:151], -v[134:135]
	v_add_f64 v[136:137], v[152:153], -v[136:137]
	v_fma_f64 v[150:151], v[132:133], s[0:1], -v[58:59]
	v_fma_f64 v[58:59], v[132:133], s[0:1], v[58:59]
	v_add_f64 v[38:39], v[70:71], v[38:39]
	v_mul_f64 v[70:71], v[138:139], s[24:25]
	v_mul_f64 v[138:139], v[138:139], s[30:31]
	v_fma_f64 v[186:187], v[124:125], s[6:7], -v[182:183]
	v_fma_f64 v[182:183], v[124:125], s[6:7], v[182:183]
	v_mul_f64 v[162:163], v[110:111], s[18:19]
	v_mul_f64 v[50:51], v[6:7], s[18:19]
	;; [unrolled: 1-line block ×3, first 2 shown]
	v_add_f64 v[38:39], v[54:55], v[38:39]
	v_mul_f64 v[54:55], v[126:127], s[16:17]
	s_mov_b32 s2, 0x3259b75e
	s_mov_b32 s18, 0x910ea3b9
	;; [unrolled: 1-line block ×6, first 2 shown]
	v_add_f64 v[38:39], v[46:47], v[38:39]
	v_mul_f64 v[166:167], v[56:57], s[26:27]
	v_mul_f64 v[174:175], v[20:21], s[26:27]
	s_mov_b32 s3, 0x3fb79ee6
	s_mov_b32 s19, 0xbfeb34fa
	;; [unrolled: 1-line block ×5, first 2 shown]
	v_add_f64 v[38:39], v[42:43], v[38:39]
	v_mul_f64 v[180:181], v[126:127], s[36:37]
	s_mov_b32 s47, 0x3fd71e95
	s_mov_b32 s37, 0x3fc7851a
	;; [unrolled: 1-line block ×3, first 2 shown]
	v_mul_f64 v[178:179], v[126:127], s[30:31]
	v_mul_f64 v[46:47], v[126:127], s[26:27]
	v_add_f64 v[140:141], v[154:155], -v[140:141]
	v_add_f64 v[34:35], v[34:35], v[38:39]
	v_fma_f64 v[42:43], v[132:133], s[2:3], -v[70:71]
	v_fma_f64 v[70:71], v[132:133], s[2:3], v[70:71]
	v_fma_f64 v[152:153], v[132:133], s[6:7], -v[74:75]
	v_fma_f64 v[74:75], v[132:133], s[6:7], v[74:75]
	v_fma_f64 v[154:155], v[132:133], s[10:11], -v[170:171]
	v_fma_f64 v[170:171], v[132:133], s[18:19], -v[176:177]
	v_fma_f64 v[38:39], v[132:133], s[18:19], v[176:177]
	v_add_f64 v[30:31], v[30:31], v[34:35]
	v_fma_f64 v[176:177], v[132:133], s[28:29], -v[138:139]
	v_fma_f64 v[132:133], v[132:133], s[28:29], v[138:139]
	v_fma_f64 v[138:139], v[124:125], s[10:11], -v[54:55]
	v_fma_f64 v[54:55], v[124:125], s[10:11], v[54:55]
	v_add_f64 v[134:135], v[8:9], v[134:135]
	v_add_f64 v[136:137], v[8:9], v[136:137]
	;; [unrolled: 1-line block ×5, first 2 shown]
	s_mov_b32 s40, 0x370991
	s_mov_b32 s41, 0x3fedd6d0
	v_fma_f64 v[184:185], v[124:125], s[28:29], -v[178:179]
	v_fma_f64 v[178:179], v[124:125], s[28:29], v[178:179]
	v_fma_f64 v[34:35], v[124:125], s[18:19], -v[180:181]
	v_fma_f64 v[180:181], v[124:125], s[18:19], v[180:181]
	v_add_f64 v[22:23], v[22:23], v[26:27]
	v_add_f64 v[26:27], v[8:9], v[156:157]
	v_fma_f64 v[188:189], v[124:125], s[0:1], -v[46:47]
	v_add_f64 v[42:43], v[8:9], v[42:43]
	v_add_f64 v[70:71], v[8:9], v[70:71]
	;; [unrolled: 1-line block ×15, first 2 shown]
	v_mul_f64 v[26:27], v[126:127], s[46:47]
	v_mul_f64 v[126:127], v[118:119], s[36:37]
	v_add_f64 v[30:31], v[54:55], v[58:59]
	v_fma_f64 v[46:47], v[124:125], s[0:1], v[46:47]
	v_add_f64 v[66:67], v[66:67], -v[128:129]
	s_mov_b32 s36, 0x2a9d6da3
	s_mov_b32 s37, 0x3fe58eea
	;; [unrolled: 1-line block ×3, first 2 shown]
	v_fma_f64 v[136:137], v[124:125], s[40:41], -v[26:27]
	v_fma_f64 v[26:27], v[124:125], s[40:41], v[26:27]
	v_add_f64 v[124:125], v[158:159], -v[130:131]
	v_fma_f64 v[128:129], v[116:117], s[28:29], -v[126:127]
	v_fma_f64 v[126:127], v[116:117], s[28:29], v[126:127]
	v_mul_f64 v[130:131], v[118:119], s[44:45]
	s_mov_b32 s42, s46
	v_add_f64 v[42:43], v[184:185], v[42:43]
	s_mov_b32 s38, 0x75d4884
	v_add_f64 v[8:9], v[26:27], v[8:9]
	v_add_f64 v[26:27], v[66:67], v[132:133]
	;; [unrolled: 1-line block ×5, first 2 shown]
	v_fma_f64 v[124:125], v[116:117], s[6:7], -v[130:131]
	v_mul_f64 v[126:127], v[118:119], s[36:37]
	v_mul_f64 v[128:129], v[118:119], s[42:43]
	s_mov_b32 s39, 0x3fe7a5f6
	v_add_f64 v[54:55], v[178:179], v[70:71]
	v_add_f64 v[58:59], v[180:181], v[74:75]
	v_fma_f64 v[130:131], v[116:117], s[6:7], v[130:131]
	v_add_f64 v[38:39], v[46:47], v[38:39]
	v_add_f64 v[42:43], v[124:125], v[42:43]
	v_mul_f64 v[124:125], v[118:119], s[24:25]
	v_fma_f64 v[132:133], v[116:117], s[38:39], -v[126:127]
	v_fma_f64 v[126:127], v[116:117], s[38:39], v[126:127]
	v_fma_f64 v[134:135], v[116:117], s[40:41], -v[128:129]
	v_fma_f64 v[128:129], v[116:117], s[40:41], v[128:129]
	v_mul_f64 v[118:119], v[118:119], s[22:23]
	v_add_f64 v[46:47], v[136:137], v[156:157]
	v_add_f64 v[54:55], v[130:131], v[54:55]
	v_fma_f64 v[130:131], v[116:117], s[2:3], -v[124:125]
	v_fma_f64 v[124:125], v[116:117], s[2:3], v[124:125]
	v_add_f64 v[58:59], v[126:127], v[58:59]
	v_mul_f64 v[126:127], v[112:113], s[44:45]
	v_add_f64 v[18:19], v[128:129], v[18:19]
	v_fma_f64 v[128:129], v[116:117], s[18:19], -v[118:119]
	v_add_f64 v[34:35], v[34:35], v[150:151]
	v_fma_f64 v[116:117], v[116:117], s[18:19], v[118:119]
	v_add_f64 v[118:119], v[160:161], -v[120:121]
	v_add_f64 v[38:39], v[124:125], v[38:39]
	v_add_f64 v[120:121], v[162:163], -v[122:123]
	v_fma_f64 v[122:123], v[110:111], s[6:7], -v[126:127]
	v_fma_f64 v[124:125], v[110:111], s[6:7], v[126:127]
	v_mul_f64 v[126:127], v[112:113], s[46:47]
	v_add_f64 v[46:47], v[128:129], v[46:47]
	v_mul_f64 v[128:129], v[112:113], s[34:35]
	s_mov_b32 s45, 0x3fe9895b
	s_mov_b32 s44, s16
	v_add_f64 v[34:35], v[132:133], v[34:35]
	v_add_f64 v[8:9], v[116:117], v[8:9]
	;; [unrolled: 1-line block ×6, first 2 shown]
	v_fma_f64 v[116:117], v[110:111], s[40:41], -v[126:127]
	v_fma_f64 v[118:119], v[110:111], s[40:41], v[126:127]
	v_fma_f64 v[120:121], v[110:111], s[0:1], -v[128:129]
	v_fma_f64 v[122:123], v[110:111], s[0:1], v[128:129]
	v_mul_f64 v[124:125], v[112:113], s[22:23]
	v_mul_f64 v[126:127], v[112:113], s[44:45]
	;; [unrolled: 1-line block ×3, first 2 shown]
	v_add_f64 v[70:71], v[186:187], v[152:153]
	v_add_f64 v[74:75], v[188:189], v[154:155]
	;; [unrolled: 1-line block ×5, first 2 shown]
	v_fma_f64 v[116:117], v[110:111], s[18:19], -v[124:125]
	v_fma_f64 v[118:119], v[110:111], s[18:19], v[124:125]
	v_add_f64 v[58:59], v[122:123], v[58:59]
	v_fma_f64 v[120:121], v[110:111], s[10:11], -v[126:127]
	v_fma_f64 v[122:123], v[110:111], s[10:11], v[126:127]
	v_fma_f64 v[124:125], v[110:111], s[38:39], -v[112:113]
	v_fma_f64 v[110:111], v[110:111], s[38:39], v[112:113]
	v_add_f64 v[70:71], v[134:135], v[70:71]
	v_add_f64 v[74:75], v[130:131], v[74:75]
	v_add_f64 v[112:113], v[164:165], -v[114:115]
	v_mul_f64 v[114:115], v[60:61], s[36:37]
	v_add_f64 v[72:73], v[166:167], -v[72:73]
	v_add_f64 v[18:19], v[118:119], v[18:19]
	v_add_f64 v[46:47], v[124:125], v[46:47]
	;; [unrolled: 1-line block ×3, first 2 shown]
	v_mul_f64 v[110:111], v[60:61], s[34:35]
	s_mov_b32 s35, 0x3fefdd0d
	s_mov_b32 s34, s24
	v_add_f64 v[70:71], v[116:117], v[70:71]
	v_add_f64 v[74:75], v[120:121], v[74:75]
	;; [unrolled: 1-line block ×3, first 2 shown]
	v_fma_f64 v[112:113], v[56:57], s[38:39], -v[114:115]
	v_fma_f64 v[114:115], v[56:57], s[38:39], v[114:115]
	v_mul_f64 v[116:117], v[60:61], s[30:31]
	v_mul_f64 v[118:119], v[60:61], s[34:35]
	v_add_f64 v[66:67], v[72:73], v[66:67]
	v_fma_f64 v[72:73], v[56:57], s[0:1], -v[110:111]
	v_fma_f64 v[110:111], v[56:57], s[0:1], v[110:111]
	v_mul_f64 v[120:121], v[60:61], s[42:43]
	v_add_f64 v[22:23], v[112:113], v[22:23]
	v_add_f64 v[30:31], v[114:115], v[30:31]
	v_fma_f64 v[112:113], v[56:57], s[28:29], -v[116:117]
	v_fma_f64 v[114:115], v[56:57], s[28:29], v[116:117]
	v_mul_f64 v[60:61], v[60:61], s[16:17]
	v_add_f64 v[42:43], v[72:73], v[42:43]
	v_add_f64 v[54:55], v[110:111], v[54:55]
	v_fma_f64 v[72:73], v[56:57], s[2:3], v[118:119]
	v_fma_f64 v[110:111], v[56:57], s[40:41], -v[120:121]
	v_fma_f64 v[116:117], v[56:57], s[2:3], -v[118:119]
	v_add_f64 v[34:35], v[112:113], v[34:35]
	v_add_f64 v[58:59], v[114:115], v[58:59]
	v_mul_f64 v[112:113], v[48:49], s[42:43]
	v_fma_f64 v[114:115], v[56:57], s[40:41], v[120:121]
	s_mov_b32 s47, 0xbfe58eea
	v_add_f64 v[18:19], v[72:73], v[18:19]
	v_fma_f64 v[72:73], v[56:57], s[10:11], -v[60:61]
	v_fma_f64 v[56:57], v[56:57], s[10:11], v[60:61]
	v_add_f64 v[60:61], v[168:169], -v[64:65]
	v_add_f64 v[64:65], v[172:173], -v[68:69]
	v_add_f64 v[68:69], v[110:111], v[74:75]
	v_mul_f64 v[110:111], v[48:49], s[22:23]
	s_mov_b32 s46, s36
	v_fma_f64 v[74:75], v[36:37], s[40:41], -v[112:113]
	v_add_f64 v[46:47], v[72:73], v[46:47]
	v_add_f64 v[8:9], v[56:57], v[8:9]
	;; [unrolled: 1-line block ×4, first 2 shown]
	v_fma_f64 v[60:61], v[36:37], s[40:41], v[112:113]
	v_mul_f64 v[64:65], v[48:49], s[34:35]
	v_fma_f64 v[66:67], v[36:37], s[18:19], -v[110:111]
	v_mul_f64 v[72:73], v[48:49], s[46:47]
	v_add_f64 v[38:39], v[122:123], v[38:39]
	v_add_f64 v[70:71], v[116:117], v[70:71]
	;; [unrolled: 1-line block ×3, first 2 shown]
	v_fma_f64 v[74:75], v[36:37], s[18:19], v[110:111]
	v_add_f64 v[30:31], v[60:61], v[30:31]
	v_mul_f64 v[60:61], v[48:49], s[30:31]
	v_fma_f64 v[110:111], v[36:37], s[2:3], -v[64:65]
	v_add_f64 v[42:43], v[66:67], v[42:43]
	v_fma_f64 v[64:65], v[36:37], s[2:3], v[64:65]
	v_mul_f64 v[48:49], v[48:49], s[26:27]
	v_fma_f64 v[66:67], v[36:37], s[38:39], -v[72:73]
	v_add_f64 v[38:39], v[114:115], v[38:39]
	v_add_f64 v[54:55], v[74:75], v[54:55]
	v_fma_f64 v[72:73], v[36:37], s[38:39], v[72:73]
	v_fma_f64 v[74:75], v[36:37], s[28:29], -v[60:61]
	v_fma_f64 v[60:61], v[36:37], s[28:29], v[60:61]
	v_add_f64 v[58:59], v[64:65], v[58:59]
	v_fma_f64 v[64:65], v[36:37], s[0:1], -v[48:49]
	v_add_f64 v[66:67], v[66:67], v[70:71]
	v_mul_f64 v[70:71], v[24:25], s[24:25]
	v_fma_f64 v[36:37], v[36:37], s[0:1], v[48:49]
	v_add_f64 v[44:45], v[174:175], -v[44:45]
	v_add_f64 v[40:41], v[62:63], -v[40:41]
	v_add_f64 v[38:39], v[60:61], v[38:39]
	v_mul_f64 v[60:61], v[24:25], s[44:45]
	v_add_f64 v[18:19], v[72:73], v[18:19]
	v_add_f64 v[46:47], v[64:65], v[46:47]
	v_fma_f64 v[48:49], v[20:21], s[2:3], -v[70:71]
	v_fma_f64 v[62:63], v[20:21], s[2:3], v[70:71]
	v_add_f64 v[8:9], v[36:37], v[8:9]
	v_mul_f64 v[36:37], v[24:25], s[42:43]
	v_add_f64 v[26:27], v[44:45], v[26:27]
	v_mul_f64 v[44:45], v[24:25], s[30:31]
	v_add_f64 v[40:41], v[40:41], v[56:57]
	v_fma_f64 v[56:57], v[20:21], s[10:11], v[60:61]
	v_add_f64 v[22:23], v[48:49], v[22:23]
	v_fma_f64 v[48:49], v[20:21], s[10:11], -v[60:61]
	v_add_f64 v[30:31], v[62:63], v[30:31]
	v_fma_f64 v[60:61], v[20:21], s[40:41], -v[36:37]
	v_fma_f64 v[36:37], v[20:21], s[40:41], v[36:37]
	v_fma_f64 v[62:63], v[20:21], s[28:29], -v[44:45]
	v_mul_f64 v[64:65], v[24:25], s[36:37]
	v_fma_f64 v[44:45], v[20:21], s[28:29], v[44:45]
	v_mul_f64 v[24:25], v[24:25], s[12:13]
	v_add_f64 v[42:43], v[48:49], v[42:43]
	v_add_f64 v[48:49], v[56:57], v[54:55]
	v_add_f64 v[28:29], v[50:51], -v[28:29]
	v_add_f64 v[36:37], v[36:37], v[58:59]
	v_add_f64 v[32:33], v[52:53], -v[32:33]
	v_fma_f64 v[56:57], v[20:21], s[38:39], -v[64:65]
	v_add_f64 v[18:19], v[44:45], v[18:19]
	v_fma_f64 v[44:45], v[20:21], s[38:39], v[64:65]
	v_fma_f64 v[58:59], v[20:21], s[6:7], -v[24:25]
	v_fma_f64 v[20:21], v[20:21], s[6:7], v[24:25]
	v_mul_f64 v[24:25], v[16:17], s[22:23]
	v_mul_f64 v[52:53], v[16:17], s[36:37]
	v_add_f64 v[34:35], v[110:111], v[34:35]
	v_add_f64 v[26:27], v[28:29], v[26:27]
	;; [unrolled: 1-line block ×6, first 2 shown]
	v_fma_f64 v[20:21], v[6:7], s[18:19], -v[24:25]
	v_fma_f64 v[24:25], v[6:7], s[18:19], v[24:25]
	v_fma_f64 v[32:33], v[6:7], s[38:39], -v[52:53]
	v_fma_f64 v[40:41], v[6:7], s[38:39], v[52:53]
	v_mul_f64 v[46:47], v[16:17], s[16:17]
	v_add_f64 v[68:69], v[74:75], v[68:69]
	v_mul_f64 v[52:53], v[16:17], s[26:27]
	v_add_f64 v[34:35], v[60:61], v[34:35]
	v_add_f64 v[20:21], v[20:21], v[22:23]
	v_mul_f64 v[22:23], v[16:17], s[12:13]
	v_mul_f64 v[16:17], v[16:17], s[34:35]
	v_add_f64 v[24:25], v[24:25], v[30:31]
	v_add_f64 v[30:31], v[32:33], v[42:43]
	;; [unrolled: 1-line block ×3, first 2 shown]
	v_fma_f64 v[40:41], v[6:7], s[10:11], -v[46:47]
	v_add_f64 v[54:55], v[62:63], v[66:67]
	v_add_f64 v[50:51], v[56:57], v[68:69]
	v_fma_f64 v[42:43], v[6:7], s[0:1], -v[52:53]
	v_fma_f64 v[48:49], v[6:7], s[0:1], v[52:53]
	v_fma_f64 v[52:53], v[6:7], s[6:7], -v[22:23]
	v_fma_f64 v[56:57], v[6:7], s[2:3], -v[16:17]
	v_fma_f64 v[16:17], v[6:7], s[2:3], v[16:17]
	v_fma_f64 v[22:23], v[6:7], s[6:7], v[22:23]
	;; [unrolled: 1-line block ×3, first 2 shown]
	v_add_f64 v[34:35], v[40:41], v[34:35]
	v_add_f64 v[40:41], v[42:43], v[54:55]
	;; [unrolled: 1-line block ×8, first 2 shown]
	v_lshl_add_u32 v22, v106, 7, v107
	ds_write2_b64 v22, v[14:15], v[26:27] offset1:1
	ds_write2_b64 v22, v[28:29], v[20:21] offset0:2 offset1:3
	ds_write2_b64 v22, v[30:31], v[34:35] offset0:4 offset1:5
	;; [unrolled: 1-line block ×7, first 2 shown]
	ds_write_b64 v22, v[12:13] offset:128
.LBB0_15:
	s_or_b64 exec, exec, s[20:21]
	s_movk_i32 s0, 0xf1
	v_mul_lo_u16_sdwa v6, v106, s0 dst_sel:DWORD dst_unused:UNUSED_PAD src0_sel:BYTE_0 src1_sel:DWORD
	v_lshrrev_b16_e32 v136, 12, v6
	v_mul_lo_u16_e32 v6, 17, v136
	v_sub_u16_e32 v137, v106, v6
	v_mov_b32_e32 v18, 5
	v_add_u32_e32 v111, 0x77, v106
	v_lshlrev_b32_sdwa v19, v18, v137 dst_sel:DWORD dst_unused:UNUSED_PAD src0_sel:DWORD src1_sel:BYTE_0
	s_load_dwordx2 s[2:3], s[4:5], 0x0
	s_waitcnt lgkmcnt(0)
	s_barrier
	global_load_dwordx4 v[6:9], v19, s[8:9] offset:16
	global_load_dwordx4 v[14:17], v19, s[8:9]
	v_mul_lo_u16_sdwa v19, v111, s0 dst_sel:DWORD dst_unused:UNUSED_PAD src0_sel:BYTE_0 src1_sel:DWORD
	v_lshrrev_b16_e32 v138, 12, v19
	v_mul_lo_u16_e32 v19, 17, v138
	v_sub_u16_e32 v139, v111, v19
	v_add_u32_e32 v110, 0xee, v106
	v_lshlrev_b32_sdwa v26, v18, v139 dst_sel:DWORD dst_unused:UNUSED_PAD src0_sel:DWORD src1_sel:BYTE_0
	s_mov_b32 s0, 0xf0f1
	global_load_dwordx4 v[18:21], v26, s[8:9] offset:16
	global_load_dwordx4 v[22:25], v26, s[8:9]
	v_mul_u32_u24_sdwa v26, v110, s0 dst_sel:DWORD dst_unused:UNUSED_PAD src0_sel:WORD_0 src1_sel:DWORD
	v_lshrrev_b32_e32 v140, 20, v26
	v_mul_lo_u16_e32 v26, 17, v140
	v_sub_u16_e32 v141, v110, v26
	v_add_u32_e32 v34, 0x165, v106
	v_lshlrev_b32_e32 v35, 5, v141
	global_load_dwordx4 v[26:29], v35, s[8:9] offset:16
	global_load_dwordx4 v[30:33], v35, s[8:9]
	v_mul_u32_u24_sdwa v35, v34, s0 dst_sel:DWORD dst_unused:UNUSED_PAD src0_sel:WORD_0 src1_sel:DWORD
	v_lshrrev_b32_e32 v142, 20, v35
	v_mul_lo_u16_e32 v35, 17, v142
	v_sub_u16_e32 v143, v34, v35
	v_add_u32_e32 v42, 0x1dc, v106
	v_lshlrev_b32_e32 v43, 5, v143
	global_load_dwordx4 v[34:37], v43, s[8:9] offset:16
	global_load_dwordx4 v[38:41], v43, s[8:9]
	v_mul_u32_u24_sdwa v43, v42, s0 dst_sel:DWORD dst_unused:UNUSED_PAD src0_sel:WORD_0 src1_sel:DWORD
	v_lshrrev_b32_e32 v150, 20, v43
	v_mul_lo_u16_e32 v43, 17, v150
	v_sub_u16_e32 v151, v42, v43
	v_lshlrev_b32_e32 v50, 5, v151
	global_load_dwordx4 v[42:45], v50, s[8:9]
	global_load_dwordx4 v[46:49], v50, s[8:9] offset:16
	ds_read2_b64 v[50:53], v107 offset1:119
	ds_read2_b64 v[54:57], v145 offset0:92 offset1:211
	ds_read2_b64 v[58:61], v144 offset0:38 offset1:157
	;; [unrolled: 1-line block ×6, first 2 shown]
	ds_read_b64 v[74:75], v107 offset:13328
	s_mov_b32 s0, 0xe8584caa
	s_mov_b32 s1, 0xbfebb67a
	;; [unrolled: 1-line block ×4, first 2 shown]
	v_mov_b32_e32 v152, 3
	s_waitcnt vmcnt(0) lgkmcnt(0)
	s_barrier
	s_mov_b32 s6, 0x4755a5e
	s_mov_b32 s7, 0xbfe2cf23
	s_mov_b32 s13, 0x3fee6f0e
	s_mov_b32 s17, 0x3fe2cf23
	s_mov_b32 s16, s6
	s_mov_b32 s10, 0x372fe950
	s_mov_b32 s11, 0x3fd3c6ef
	v_mul_f64 v[118:119], v[58:59], v[8:9]
	v_mul_f64 v[116:117], v[56:57], v[16:17]
	;; [unrolled: 1-line block ×8, first 2 shown]
	v_fma_f64 v[78:79], v[78:79], v[14:15], v[116:117]
	v_fma_f64 v[14:15], v[56:57], v[14:15], -v[16:17]
	v_fma_f64 v[16:17], v[100:101], v[6:7], v[118:119]
	v_mul_f64 v[126:127], v[70:71], v[28:29]
	v_mul_f64 v[124:125], v[64:65], v[32:33]
	;; [unrolled: 1-line block ×4, first 2 shown]
	v_fma_f64 v[6:7], v[58:59], v[6:7], -v[8:9]
	v_fma_f64 v[8:9], v[96:97], v[22:23], v[120:121]
	v_fma_f64 v[22:23], v[62:63], v[22:23], -v[24:25]
	v_mul_f64 v[130:131], v[72:73], v[36:37]
	v_mul_f64 v[128:129], v[112:113], v[40:41]
	;; [unrolled: 1-line block ×4, first 2 shown]
	v_fma_f64 v[24:25], v[102:103], v[18:19], v[122:123]
	v_fma_f64 v[18:19], v[60:61], v[18:19], -v[20:21]
	v_mul_f64 v[132:133], v[114:115], v[44:45]
	v_mul_f64 v[44:45], v[90:91], v[44:45]
	;; [unrolled: 1-line block ×4, first 2 shown]
	v_fma_f64 v[20:21], v[98:99], v[30:31], v[124:125]
	v_fma_f64 v[30:31], v[64:65], v[30:31], -v[32:33]
	v_fma_f64 v[32:33], v[92:93], v[26:27], v[126:127]
	v_fma_f64 v[26:27], v[70:71], v[26:27], -v[28:29]
	;; [unrolled: 2-line block ×5, first 2 shown]
	v_fma_f64 v[44:45], v[74:75], v[46:47], -v[48:49]
	v_add_f64 v[48:49], v[78:79], v[16:17]
	v_add_f64 v[58:59], v[14:15], v[6:7]
	v_fma_f64 v[0:1], v[0:1], v[46:47], v[134:135]
	v_add_f64 v[46:47], v[84:85], v[78:79]
	v_add_f64 v[56:57], v[14:15], -v[6:7]
	v_add_f64 v[14:15], v[50:51], v[14:15]
	v_add_f64 v[60:61], v[78:79], -v[16:17]
	;; [unrolled: 2-line block ×3, first 2 shown]
	v_fma_f64 v[48:49], v[48:49], -0.5, v[84:85]
	v_add_f64 v[72:73], v[52:53], v[22:23]
	v_fma_f64 v[50:51], v[58:59], -0.5, v[50:51]
	v_add_f64 v[22:23], v[22:23], v[18:19]
	v_add_f64 v[62:63], v[86:87], v[8:9]
	;; [unrolled: 1-line block ×3, first 2 shown]
	v_fma_f64 v[46:47], v[64:65], -0.5, v[86:87]
	v_add_f64 v[8:9], v[8:9], -v[24:25]
	v_fma_f64 v[58:59], v[56:57], s[0:1], v[48:49]
	v_fma_f64 v[48:49], v[56:57], s[4:5], v[48:49]
	;; [unrolled: 1-line block ×4, first 2 shown]
	v_add_f64 v[60:61], v[20:21], v[32:33]
	v_fma_f64 v[22:23], v[22:23], -0.5, v[52:53]
	v_add_f64 v[52:53], v[30:31], v[26:27]
	v_add_f64 v[14:15], v[14:15], v[6:7]
	;; [unrolled: 1-line block ×6, first 2 shown]
	v_fma_f64 v[24:25], v[70:71], s[0:1], v[46:47]
	v_fma_f64 v[46:47], v[70:71], s[4:5], v[46:47]
	v_fma_f64 v[60:61], v[60:61], -0.5, v[80:81]
	v_add_f64 v[64:65], v[30:31], -v[26:27]
	v_fma_f64 v[70:71], v[8:9], s[4:5], v[22:23]
	v_fma_f64 v[22:23], v[8:9], s[0:1], v[22:23]
	v_add_f64 v[8:9], v[66:67], v[30:31]
	v_fma_f64 v[30:31], v[52:53], -0.5, v[66:67]
	v_add_f64 v[20:21], v[20:21], -v[32:33]
	v_add_f64 v[32:33], v[62:63], v[32:33]
	v_add_f64 v[62:63], v[82:83], v[28:29]
	v_fma_f64 v[66:67], v[72:73], -0.5, v[82:83]
	v_add_f64 v[72:73], v[38:39], -v[34:35]
	v_fma_f64 v[52:53], v[64:65], s[0:1], v[60:61]
	v_fma_f64 v[60:61], v[64:65], s[4:5], v[60:61]
	v_add_f64 v[64:65], v[8:9], v[26:27]
	v_fma_f64 v[74:75], v[20:21], s[4:5], v[30:31]
	v_add_f64 v[8:9], v[38:39], v[34:35]
	;; [unrolled: 2-line block ×3, first 2 shown]
	v_add_f64 v[26:27], v[62:63], v[40:41]
	v_fma_f64 v[62:63], v[72:73], s[0:1], v[66:67]
	v_fma_f64 v[66:67], v[72:73], s[4:5], v[66:67]
	v_add_f64 v[72:73], v[42:43], v[44:45]
	v_add_f64 v[38:39], v[68:69], v[38:39]
	v_fma_f64 v[8:9], v[8:9], -0.5, v[68:69]
	v_add_f64 v[28:29], v[28:29], -v[40:41]
	v_add_f64 v[40:41], v[76:77], v[36:37]
	v_fma_f64 v[30:31], v[30:31], -0.5, v[76:77]
	v_add_f64 v[68:69], v[42:43], -v[44:45]
	;; [unrolled: 3-line block ×3, first 2 shown]
	v_add_f64 v[72:73], v[38:39], v[34:35]
	v_fma_f64 v[76:77], v[28:29], s[4:5], v[8:9]
	v_fma_f64 v[78:79], v[28:29], s[0:1], v[8:9]
	v_add_f64 v[0:1], v[40:41], v[0:1]
	v_fma_f64 v[8:9], v[68:69], s[0:1], v[30:31]
	v_fma_f64 v[28:29], v[68:69], s[4:5], v[30:31]
	v_mul_u32_u24_e32 v30, 0x198, v136
	v_lshlrev_b32_sdwa v31, v152, v137 dst_sel:DWORD dst_unused:UNUSED_PAD src0_sel:DWORD src1_sel:BYTE_0
	v_add3_u32 v82, 0, v30, v31
	ds_write2_b64 v82, v[16:17], v[58:59] offset1:17
	ds_write_b64 v82, v[48:49] offset:272
	v_mul_u32_u24_e32 v16, 0x198, v138
	v_lshlrev_b32_sdwa v17, v152, v139 dst_sel:DWORD dst_unused:UNUSED_PAD src0_sel:DWORD src1_sel:BYTE_0
	v_add3_u32 v16, 0, v16, v17
	ds_write2_b64 v16, v[6:7], v[24:25] offset1:17
	ds_write_b64 v16, v[46:47] offset:272
	v_mul_u32_u24_e32 v6, 0x198, v140
	v_lshlrev_b32_e32 v7, 3, v141
	v_add3_u32 v17, 0, v6, v7
	v_mul_u32_u24_e32 v6, 0x198, v142
	v_lshlrev_b32_e32 v7, 3, v143
	v_add3_u32 v48, 0, v6, v7
	v_mul_u32_u24_e32 v6, 0x198, v150
	v_lshlrev_b32_e32 v7, 3, v151
	v_fma_f64 v[80:81], v[36:37], s[4:5], v[54:55]
	v_fma_f64 v[54:55], v[36:37], s[0:1], v[54:55]
	v_add3_u32 v49, 0, v6, v7
	s_movk_i32 s0, 0xa1
	v_add_f64 v[68:69], v[42:43], v[44:45]
	ds_write2_b64 v17, v[32:33], v[52:53] offset1:17
	ds_write_b64 v17, v[60:61] offset:272
	ds_write2_b64 v48, v[26:27], v[62:63] offset1:17
	ds_write_b64 v48, v[66:67] offset:272
	;; [unrolled: 2-line block ×3, first 2 shown]
	s_waitcnt lgkmcnt(0)
	s_barrier
	ds_read2_b64 v[24:27], v107 offset1:119
	ds_read2_b64 v[6:9], v148 offset0:110 offset1:229
	ds_read2_b64 v[28:31], v146 offset0:74 offset1:193
	;; [unrolled: 1-line block ×6, first 2 shown]
	ds_read_b64 v[0:1], v107 offset:13328
	s_waitcnt lgkmcnt(0)
	s_barrier
	ds_write2_b64 v82, v[14:15], v[56:57] offset1:17
	ds_write_b64 v82, v[50:51] offset:272
	ds_write2_b64 v16, v[18:19], v[70:71] offset1:17
	ds_write_b64 v16, v[22:23] offset:272
	;; [unrolled: 2-line block ×5, first 2 shown]
	v_mul_lo_u16_sdwa v14, v106, s0 dst_sel:DWORD dst_unused:UNUSED_PAD src0_sel:BYTE_0 src1_sel:DWORD
	v_lshrrev_b16_e32 v150, 13, v14
	v_mul_lo_u16_e32 v14, 51, v150
	v_sub_u16_e32 v151, v106, v14
	v_mov_b32_e32 v14, 6
	v_lshlrev_b32_sdwa v15, v14, v151 dst_sel:DWORD dst_unused:UNUSED_PAD src0_sel:DWORD src1_sel:BYTE_0
	s_waitcnt lgkmcnt(0)
	s_barrier
	global_load_dwordx4 v[48:51], v15, s[8:9] offset:544
	global_load_dwordx4 v[52:55], v15, s[8:9] offset:560
	;; [unrolled: 1-line block ×4, first 2 shown]
	v_mul_lo_u16_sdwa v15, v111, s0 dst_sel:DWORD dst_unused:UNUSED_PAD src0_sel:BYTE_0 src1_sel:DWORD
	v_lshrrev_b16_e32 v153, 13, v15
	v_mul_lo_u16_e32 v15, 51, v153
	v_sub_u16_e32 v154, v111, v15
	v_lshlrev_b32_sdwa v14, v14, v154 dst_sel:DWORD dst_unused:UNUSED_PAD src0_sel:DWORD src1_sel:BYTE_0
	global_load_dwordx4 v[64:67], v14, s[8:9] offset:544
	global_load_dwordx4 v[84:87], v14, s[8:9] offset:560
	;; [unrolled: 1-line block ×4, first 2 shown]
	s_mov_b32 s0, 0xa0a1
	v_mul_u32_u24_sdwa v14, v110, s0 dst_sel:DWORD dst_unused:UNUSED_PAD src0_sel:WORD_0 src1_sel:DWORD
	v_lshrrev_b32_e32 v155, 21, v14
	v_mul_lo_u16_e32 v14, 51, v155
	v_sub_u16_e32 v156, v110, v14
	v_lshlrev_b32_e32 v14, 6, v156
	global_load_dwordx4 v[116:119], v14, s[8:9] offset:544
	global_load_dwordx4 v[120:123], v14, s[8:9] offset:560
	;; [unrolled: 1-line block ×4, first 2 shown]
	ds_read2_b64 v[20:23], v107 offset1:119
	ds_read2_b64 v[14:17], v148 offset0:110 offset1:229
	ds_read2_b64 v[70:73], v146 offset0:74 offset1:193
	ds_read2_b64 v[132:135], v149 offset0:56 offset1:175
	ds_read2_b64 v[78:81], v147 offset0:20 offset1:139
	ds_read2_b64 v[136:139], v145 offset0:92 offset1:211
	ds_read2_b64 v[140:143], v144 offset0:38 offset1:157
	ds_read_b64 v[102:103], v107 offset:13328
	s_mov_b32 s4, 0x134454ff
	s_mov_b32 s5, 0xbfee6f0e
	;; [unrolled: 1-line block ×3, first 2 shown]
	s_waitcnt vmcnt(0) lgkmcnt(0)
	s_barrier
	v_cmp_gt_u32_e64 s[0:1], 17, v106
	v_mul_f64 v[18:19], v[16:17], v[50:51]
	v_mul_f64 v[68:69], v[70:71], v[54:55]
	;; [unrolled: 1-line block ×6, first 2 shown]
	v_fma_f64 v[90:91], v[8:9], v[48:49], v[18:19]
	v_mul_f64 v[18:19], v[36:37], v[62:63]
	v_mul_f64 v[8:9], v[78:79], v[62:63]
	v_fma_f64 v[82:83], v[70:71], v[52:53], -v[54:55]
	v_fma_f64 v[76:77], v[16:17], v[48:49], -v[50:51]
	v_mul_f64 v[16:17], v[136:137], v[66:67]
	v_fma_f64 v[92:93], v[28:29], v[52:53], v[68:69]
	v_fma_f64 v[94:95], v[34:35], v[56:57], v[74:75]
	v_mul_f64 v[28:29], v[30:31], v[86:87]
	v_fma_f64 v[70:71], v[78:79], v[60:61], -v[18:19]
	v_mul_f64 v[18:19], v[72:73], v[86:87]
	v_fma_f64 v[96:97], v[36:37], v[60:61], v[8:9]
	v_mul_f64 v[8:9], v[40:41], v[66:67]
	v_mul_f64 v[34:35], v[140:141], v[100:101]
	;; [unrolled: 1-line block ×3, first 2 shown]
	v_fma_f64 v[86:87], v[40:41], v[64:65], v[16:17]
	v_mul_f64 v[16:17], v[80:81], v[114:115]
	v_fma_f64 v[54:55], v[72:73], v[84:85], -v[28:29]
	v_fma_f64 v[78:79], v[30:31], v[84:85], v[18:19]
	v_mul_f64 v[18:19], v[138:139], v[118:119]
	v_fma_f64 v[52:53], v[136:137], v[64:65], -v[8:9]
	v_fma_f64 v[84:85], v[44:45], v[98:99], v[34:35]
	v_fma_f64 v[8:9], v[140:141], v[98:99], -v[36:37]
	v_mul_f64 v[28:29], v[132:133], v[122:123]
	v_fma_f64 v[98:99], v[38:39], v[112:113], v[16:17]
	v_mul_f64 v[16:17], v[42:43], v[118:119]
	v_add_f64 v[30:31], v[24:25], v[90:91]
	v_fma_f64 v[64:65], v[42:43], v[116:117], v[18:19]
	v_mul_f64 v[18:19], v[142:143], v[126:127]
	v_add_f64 v[36:37], v[92:93], v[94:95]
	v_fma_f64 v[74:75], v[134:135], v[56:57], -v[58:59]
	v_mul_f64 v[34:35], v[32:33], v[122:123]
	v_fma_f64 v[68:69], v[32:33], v[120:121], v[28:29]
	v_fma_f64 v[58:59], v[138:139], v[116:117], -v[16:17]
	v_add_f64 v[16:17], v[30:31], v[92:93]
	v_add_f64 v[30:31], v[76:77], -v[70:71]
	v_fma_f64 v[72:73], v[46:47], v[124:125], v[18:19]
	v_mul_f64 v[18:19], v[102:103], v[130:131]
	v_fma_f64 v[28:29], v[36:37], -0.5, v[24:25]
	v_mul_f64 v[40:41], v[38:39], v[114:115]
	v_mul_f64 v[38:39], v[46:47], v[126:127]
	;; [unrolled: 1-line block ×3, first 2 shown]
	v_fma_f64 v[62:63], v[132:133], v[120:121], -v[34:35]
	v_add_f64 v[36:37], v[82:83], -v[74:75]
	v_add_f64 v[42:43], v[92:93], -v[90:91]
	v_fma_f64 v[88:89], v[0:1], v[128:129], v[18:19]
	v_add_f64 v[0:1], v[90:91], v[96:97]
	v_fma_f64 v[34:35], v[30:31], s[4:5], v[28:29]
	v_fma_f64 v[56:57], v[80:81], v[112:113], -v[40:41]
	v_fma_f64 v[60:61], v[142:143], v[124:125], -v[38:39]
	v_add_f64 v[38:39], v[90:91], -v[92:93]
	v_add_f64 v[40:41], v[96:97], -v[94:95]
	v_fma_f64 v[66:67], v[102:103], v[128:129], -v[32:33]
	v_add_f64 v[44:45], v[94:95], -v[96:97]
	v_fma_f64 v[0:1], v[0:1], -0.5, v[24:25]
	v_fma_f64 v[18:19], v[36:37], s[6:7], v[34:35]
	v_add_f64 v[34:35], v[78:79], v[84:85]
	v_fma_f64 v[24:25], v[30:31], s[12:13], v[28:29]
	v_add_f64 v[48:49], v[54:55], -v[8:9]
	v_add_f64 v[32:33], v[38:39], v[40:41]
	v_add_f64 v[38:39], v[52:53], -v[56:57]
	v_add_f64 v[42:43], v[42:43], v[44:45]
	v_fma_f64 v[40:41], v[36:37], s[12:13], v[0:1]
	v_fma_f64 v[0:1], v[36:37], s[4:5], v[0:1]
	v_fma_f64 v[34:35], v[34:35], -0.5, v[26:27]
	v_fma_f64 v[24:25], v[36:37], s[16:17], v[24:25]
	v_add_f64 v[36:37], v[86:87], v[98:99]
	v_add_f64 v[28:29], v[26:27], v[86:87]
	v_add_f64 v[50:51], v[86:87], -v[78:79]
	v_add_f64 v[80:81], v[98:99], -v[84:85]
	v_fma_f64 v[40:41], v[30:31], s[6:7], v[40:41]
	v_fma_f64 v[0:1], v[30:31], s[16:17], v[0:1]
	;; [unrolled: 1-line block ×4, first 2 shown]
	v_fma_f64 v[26:27], v[36:37], -0.5, v[26:27]
	v_fma_f64 v[24:25], v[32:33], s[10:11], v[24:25]
	v_fma_f64 v[34:35], v[38:39], s[12:13], v[34:35]
	v_add_f64 v[44:45], v[50:51], v[80:81]
	v_fma_f64 v[32:33], v[42:43], s[10:11], v[40:41]
	v_fma_f64 v[36:37], v[42:43], s[10:11], v[0:1]
	v_add_f64 v[0:1], v[68:69], v[72:73]
	v_fma_f64 v[30:31], v[48:49], s[6:7], v[46:47]
	v_add_f64 v[46:47], v[64:65], v[88:89]
	v_add_f64 v[42:43], v[78:79], -v[86:87]
	v_add_f64 v[50:51], v[84:85], -v[98:99]
	v_add_f64 v[80:81], v[6:7], v[64:65]
	v_add_f64 v[100:101], v[58:59], -v[66:67]
	v_add_f64 v[102:103], v[62:63], -v[60:61]
	v_fma_f64 v[0:1], v[0:1], -0.5, v[6:7]
	v_add_f64 v[28:29], v[28:29], v[78:79]
	v_fma_f64 v[6:7], v[46:47], -0.5, v[6:7]
	v_fma_f64 v[40:41], v[48:49], s[12:13], v[26:27]
	v_fma_f64 v[34:35], v[48:49], s[16:17], v[34:35]
	v_add_f64 v[42:43], v[42:43], v[50:51]
	v_fma_f64 v[26:27], v[48:49], s[4:5], v[26:27]
	v_add_f64 v[46:47], v[80:81], v[68:69]
	v_fma_f64 v[48:49], v[100:101], s[4:5], v[0:1]
	v_add_f64 v[50:51], v[64:65], -v[68:69]
	v_add_f64 v[80:81], v[88:89], -v[72:73]
	v_fma_f64 v[112:113], v[102:103], s[12:13], v[6:7]
	v_add_f64 v[114:115], v[68:69], -v[64:65]
	v_add_f64 v[116:117], v[72:73], -v[88:89]
	v_fma_f64 v[6:7], v[102:103], s[4:5], v[6:7]
	v_fma_f64 v[0:1], v[100:101], s[12:13], v[0:1]
	v_add_f64 v[16:17], v[16:17], v[94:95]
	v_add_f64 v[28:29], v[28:29], v[84:85]
	v_fma_f64 v[40:41], v[38:39], s[6:7], v[40:41]
	v_fma_f64 v[26:27], v[38:39], s[16:17], v[26:27]
	v_add_f64 v[38:39], v[46:47], v[72:73]
	v_fma_f64 v[46:47], v[102:103], s[6:7], v[48:49]
	v_add_f64 v[48:49], v[50:51], v[80:81]
	;; [unrolled: 2-line block ×3, first 2 shown]
	v_fma_f64 v[6:7], v[100:101], s[16:17], v[6:7]
	v_fma_f64 v[0:1], v[102:103], s[16:17], v[0:1]
	v_add_f64 v[16:17], v[16:17], v[96:97]
	v_add_f64 v[28:29], v[28:29], v[98:99]
	v_fma_f64 v[30:31], v[44:45], s[10:11], v[30:31]
	v_fma_f64 v[40:41], v[42:43], s[10:11], v[40:41]
	;; [unrolled: 1-line block ×3, first 2 shown]
	v_add_f64 v[38:39], v[38:39], v[88:89]
	v_fma_f64 v[42:43], v[48:49], s[10:11], v[46:47]
	v_fma_f64 v[34:35], v[44:45], s[10:11], v[34:35]
	;; [unrolled: 1-line block ×5, first 2 shown]
	v_mul_u32_u24_e32 v46, 0x7f8, v150
	v_lshlrev_b32_sdwa v47, v152, v151 dst_sel:DWORD dst_unused:UNUSED_PAD src0_sel:DWORD src1_sel:BYTE_0
	v_add3_u32 v100, 0, v46, v47
	ds_write2_b64 v100, v[16:17], v[18:19] offset1:51
	ds_write2_b64 v100, v[32:33], v[36:37] offset0:102 offset1:153
	ds_write_b64 v100, v[24:25] offset:1632
	v_mul_u32_u24_e32 v16, 0x7f8, v153
	v_lshlrev_b32_sdwa v17, v152, v154 dst_sel:DWORD dst_unused:UNUSED_PAD src0_sel:DWORD src1_sel:BYTE_0
	v_add3_u32 v101, 0, v16, v17
	v_mul_u32_u24_e32 v16, 0x7f8, v155
	v_lshlrev_b32_e32 v17, 3, v156
	v_add3_u32 v102, 0, v16, v17
	ds_write2_b64 v101, v[28:29], v[30:31] offset1:51
	ds_write2_b64 v101, v[40:41], v[26:27] offset0:102 offset1:153
	ds_write_b64 v101, v[34:35] offset:1632
	ds_write2_b64 v102, v[38:39], v[42:43] offset1:51
	ds_write2_b64 v102, v[44:45], v[6:7] offset0:102 offset1:153
	ds_write_b64 v102, v[0:1] offset:1632
	s_waitcnt lgkmcnt(0)
	s_barrier
	ds_read2_b64 v[24:27], v107 offset1:119
	ds_read2_b64 v[28:31], v148 offset0:127 offset1:246
	ds_read2_b64 v[40:43], v145 offset0:126 offset1:245
	;; [unrolled: 1-line block ×6, first 2 shown]
                                        ; implicit-def: $vgpr80_vgpr81
                                        ; implicit-def: $vgpr18_vgpr19
	s_and_saveexec_b64 s[18:19], s[0:1]
	s_cbranch_execz .LBB0_17
; %bb.16:
	v_add_u32_e32 v0, 0x770, v107
	v_add_u32_e32 v4, 0x1760, v107
	;; [unrolled: 1-line block ×3, first 2 shown]
	ds_read2_b64 v[0:3], v0 offset1:255
	ds_read2_b64 v[4:7], v4 offset1:255
	;; [unrolled: 1-line block ×3, first 2 shown]
	ds_read_b64 v[80:81], v107 offset:14144
.LBB0_17:
	s_or_b64 exec, exec, s[18:19]
	v_add_f64 v[112:113], v[20:21], v[76:77]
	v_add_f64 v[114:115], v[82:83], v[74:75]
	v_add_f64 v[90:91], v[90:91], -v[96:97]
	v_add_f64 v[96:97], v[76:77], v[70:71]
	v_add_f64 v[92:93], v[92:93], -v[94:95]
	v_add_f64 v[94:95], v[76:77], -v[82:83]
	;; [unrolled: 1-line block ×4, first 2 shown]
	v_add_f64 v[112:113], v[112:113], v[82:83]
	v_fma_f64 v[114:115], v[114:115], -0.5, v[20:21]
	v_add_f64 v[82:83], v[22:23], v[52:53]
	v_fma_f64 v[20:21], v[96:97], -0.5, v[20:21]
	v_add_f64 v[120:121], v[74:75], -v[70:71]
	v_add_f64 v[118:119], v[54:55], v[8:9]
	v_add_f64 v[86:87], v[86:87], -v[98:99]
	v_add_f64 v[94:95], v[94:95], v[116:117]
	v_add_f64 v[74:75], v[112:113], v[74:75]
	v_fma_f64 v[96:97], v[90:91], s[12:13], v[114:115]
	v_add_f64 v[82:83], v[82:83], v[54:55]
	v_fma_f64 v[112:113], v[90:91], s[4:5], v[114:115]
	v_fma_f64 v[114:115], v[92:93], s[4:5], v[20:21]
	;; [unrolled: 1-line block ×3, first 2 shown]
	v_add_f64 v[76:77], v[76:77], v[120:121]
	v_fma_f64 v[98:99], v[118:119], -0.5, v[22:23]
	v_add_f64 v[70:71], v[74:75], v[70:71]
	v_fma_f64 v[74:75], v[92:93], s[16:17], v[96:97]
	v_add_f64 v[82:83], v[82:83], v[8:9]
	v_fma_f64 v[92:93], v[92:93], s[6:7], v[112:113]
	v_fma_f64 v[114:115], v[90:91], s[16:17], v[114:115]
	;; [unrolled: 1-line block ×3, first 2 shown]
	v_add_f64 v[112:113], v[52:53], v[56:57]
	v_fma_f64 v[96:97], v[86:87], s[12:13], v[98:99]
	v_add_f64 v[78:79], v[78:79], -v[84:85]
	v_fma_f64 v[74:75], v[94:95], s[10:11], v[74:75]
	v_add_f64 v[84:85], v[52:53], -v[54:55]
	v_fma_f64 v[92:93], v[94:95], s[10:11], v[92:93]
	v_fma_f64 v[94:95], v[76:77], s[10:11], v[114:115]
	;; [unrolled: 1-line block ×3, first 2 shown]
	v_add_f64 v[76:77], v[82:83], v[56:57]
	v_add_f64 v[82:83], v[62:63], v[60:61]
	v_add_f64 v[52:53], v[54:55], -v[52:53]
	v_add_f64 v[54:55], v[58:59], v[66:67]
	v_fma_f64 v[22:23], v[112:113], -0.5, v[22:23]
	v_add_f64 v[116:117], v[56:57], -v[8:9]
	v_add_f64 v[8:9], v[8:9], -v[56:57]
	v_add_f64 v[56:57], v[14:15], v[58:59]
	v_add_f64 v[64:65], v[64:65], -v[88:89]
	v_fma_f64 v[82:83], v[82:83], -0.5, v[14:15]
	v_fma_f64 v[90:91], v[78:79], s[16:17], v[96:97]
	v_fma_f64 v[96:97], v[86:87], s[4:5], v[98:99]
	v_add_f64 v[68:69], v[68:69], -v[72:73]
	v_fma_f64 v[14:15], v[54:55], -0.5, v[14:15]
	v_fma_f64 v[98:99], v[78:79], s[4:5], v[22:23]
	v_fma_f64 v[22:23], v[78:79], s[12:13], v[22:23]
	v_add_f64 v[8:9], v[52:53], v[8:9]
	v_add_f64 v[52:53], v[56:57], v[62:63]
	v_fma_f64 v[54:55], v[64:65], s[12:13], v[82:83]
	v_add_f64 v[56:57], v[58:59], -v[62:63]
	v_add_f64 v[72:73], v[66:67], -v[60:61]
	v_fma_f64 v[88:89], v[78:79], s[6:7], v[96:97]
	v_fma_f64 v[78:79], v[64:65], s[4:5], v[82:83]
	;; [unrolled: 1-line block ×3, first 2 shown]
	v_add_f64 v[58:59], v[62:63], -v[58:59]
	v_add_f64 v[62:63], v[60:61], -v[66:67]
	v_fma_f64 v[14:15], v[68:69], s[12:13], v[14:15]
	v_add_f64 v[84:85], v[84:85], v[116:117]
	v_fma_f64 v[96:97], v[86:87], s[16:17], v[98:99]
	v_fma_f64 v[22:23], v[86:87], s[6:7], v[22:23]
	v_add_f64 v[52:53], v[52:53], v[60:61]
	v_fma_f64 v[54:55], v[68:69], s[16:17], v[54:55]
	v_add_f64 v[56:57], v[56:57], v[72:73]
	v_fma_f64 v[60:61], v[68:69], s[6:7], v[78:79]
	v_fma_f64 v[68:69], v[64:65], s[16:17], v[82:83]
	v_add_f64 v[58:59], v[58:59], v[62:63]
	v_fma_f64 v[14:15], v[64:65], s[6:7], v[14:15]
	v_fma_f64 v[90:91], v[84:85], s[10:11], v[90:91]
	;; [unrolled: 1-line block ×5, first 2 shown]
	v_add_f64 v[52:53], v[52:53], v[66:67]
	v_fma_f64 v[54:55], v[56:57], s[10:11], v[54:55]
	v_fma_f64 v[8:9], v[56:57], s[10:11], v[60:61]
	;; [unrolled: 1-line block ×4, first 2 shown]
	s_waitcnt lgkmcnt(0)
	s_barrier
	ds_write2_b64 v100, v[70:71], v[74:75] offset1:51
	ds_write2_b64 v100, v[94:95], v[20:21] offset0:102 offset1:153
	ds_write_b64 v100, v[92:93] offset:1632
	ds_write2_b64 v101, v[76:77], v[90:91] offset1:51
	ds_write2_b64 v101, v[64:65], v[22:23] offset0:102 offset1:153
	ds_write_b64 v101, v[62:63] offset:1632
	;; [unrolled: 3-line block ×3, first 2 shown]
	v_add_u32_e32 v14, 0x400, v107
	s_waitcnt lgkmcnt(0)
	s_barrier
	ds_read2_b64 v[56:59], v14 offset0:127 offset1:246
	v_add_u32_e32 v14, 0xc00, v107
	ds_read2_b64 v[60:63], v14 offset0:126 offset1:245
	v_add_u32_e32 v14, 0x1400, v107
	;; [unrolled: 2-line block ×5, first 2 shown]
	ds_read2_b64 v[52:55], v107 offset1:119
	ds_read2_b64 v[76:79], v14 offset0:122 offset1:241
                                        ; implicit-def: $vgpr82_vgpr83
                                        ; implicit-def: $vgpr22_vgpr23
	s_and_saveexec_b64 s[4:5], s[0:1]
	s_cbranch_execz .LBB0_19
; %bb.18:
	v_add_u32_e32 v8, 0x770, v107
	v_add_u32_e32 v12, 0x1760, v107
	;; [unrolled: 1-line block ×3, first 2 shown]
	ds_read2_b64 v[8:11], v8 offset1:255
	ds_read2_b64 v[12:15], v12 offset1:255
	;; [unrolled: 1-line block ×3, first 2 shown]
	ds_read_b64 v[82:83], v107 offset:14144
.LBB0_19:
	s_or_b64 exec, exec, s[4:5]
	s_and_saveexec_b64 s[4:5], vcc
	s_cbranch_execz .LBB0_22
; %bb.20:
	v_mul_u32_u24_e32 v84, 6, v111
	v_lshlrev_b32_e32 v107, 4, v84
	global_load_dwordx4 v[84:87], v107, s[8:9] offset:3856
	global_load_dwordx4 v[88:91], v107, s[8:9] offset:3840
	;; [unrolled: 1-line block ×6, first 2 shown]
	v_mul_u32_u24_e32 v107, 6, v106
	v_lshlrev_b32_e32 v107, 4, v107
	global_load_dwordx4 v[116:119], v107, s[8:9] offset:3856
	global_load_dwordx4 v[120:123], v107, s[8:9] offset:3840
	;; [unrolled: 1-line block ×6, first 2 shown]
	v_mul_lo_u32 v107, s3, v108
	v_mul_lo_u32 v140, s2, v109
	v_mad_u64_u32 v[108:109], s[2:3], s2, v108, 0
	s_mov_b32 s20, 0xe976ee23
	s_mov_b32 s16, 0x36b3c0b5
	v_add3_u32 v109, v109, v140, v107
	s_mov_b32 s24, 0x37e14327
	s_mov_b32 s12, 0x429ad128
	;; [unrolled: 1-line block ×18, first 2 shown]
	v_mov_b32_e32 v107, 0
	s_movk_i32 s26, 0x4000
	s_mov_b32 s28, 0x80808081
	s_movk_i32 s27, 0x5000
	s_waitcnt vmcnt(11)
	v_mul_f64 v[140:141], v[34:35], v[84:85]
	s_waitcnt vmcnt(10)
	v_mul_f64 v[142:143], v[50:51], v[88:89]
	;; [unrolled: 2-line block ×6, first 2 shown]
	v_mul_f64 v[42:43], v[42:43], v[94:95]
	v_mul_f64 v[46:47], v[46:47], v[98:99]
	;; [unrolled: 1-line block ×6, first 2 shown]
	s_waitcnt lgkmcnt(3)
	v_fma_f64 v[86:87], v[66:67], v[86:87], v[140:141]
	v_fma_f64 v[90:91], v[70:71], v[90:91], v[142:143]
	v_fma_f64 v[42:43], v[62:63], v[92:93], -v[42:43]
	s_waitcnt lgkmcnt(2)
	v_fma_f64 v[46:47], v[74:75], v[96:97], -v[46:47]
	v_fma_f64 v[30:31], v[58:59], v[100:101], -v[30:31]
	s_waitcnt lgkmcnt(0)
	v_fma_f64 v[38:39], v[78:79], v[112:113], -v[38:39]
	v_fma_f64 v[94:95], v[62:63], v[94:95], v[144:145]
	v_fma_f64 v[98:99], v[74:75], v[98:99], v[146:147]
	;; [unrolled: 1-line block ×4, first 2 shown]
	v_fma_f64 v[50:51], v[70:71], v[88:89], -v[50:51]
	v_fma_f64 v[34:35], v[66:67], v[84:85], -v[34:35]
	v_add_f64 v[88:89], v[42:43], v[46:47]
	v_add_f64 v[92:93], v[30:31], v[38:39]
	v_add_f64 v[70:71], v[86:87], -v[90:91]
	v_add_f64 v[74:75], v[94:95], -v[98:99]
	v_add_f64 v[86:87], v[86:87], v[90:91]
	v_add_f64 v[78:79], v[102:103], -v[114:115]
	v_add_f64 v[90:91], v[94:95], v[98:99]
	v_add_f64 v[84:85], v[34:35], v[50:51]
	;; [unrolled: 1-line block ×3, first 2 shown]
	v_add_f64 v[34:35], v[34:35], -v[50:51]
	v_add_f64 v[42:43], v[42:43], -v[46:47]
	v_add_f64 v[98:99], v[88:89], v[92:93]
	v_add_f64 v[30:31], v[30:31], -v[38:39]
	v_add_f64 v[38:39], v[70:71], v[74:75]
	v_add_f64 v[46:47], v[70:71], -v[74:75]
	v_add_f64 v[50:51], v[78:79], -v[70:71]
	;; [unrolled: 1-line block ×6, first 2 shown]
	v_add_f64 v[112:113], v[90:91], v[94:95]
	v_add_f64 v[114:115], v[34:35], v[42:43]
	v_add_f64 v[140:141], v[34:35], -v[42:43]
	v_add_f64 v[74:75], v[74:75], -v[78:79]
	;; [unrolled: 1-line block ×3, first 2 shown]
	v_add_f64 v[94:95], v[84:85], v[98:99]
	v_add_f64 v[34:35], v[30:31], -v[34:35]
	v_add_f64 v[88:89], v[88:89], -v[92:93]
	;; [unrolled: 1-line block ×3, first 2 shown]
	v_add_f64 v[38:39], v[38:39], v[78:79]
	v_mul_f64 v[46:47], v[46:47], s[20:21]
	v_mul_f64 v[78:79], v[70:71], s[16:17]
	;; [unrolled: 1-line block ×4, first 2 shown]
	v_add_f64 v[102:103], v[86:87], v[112:113]
	v_add_f64 v[30:31], v[114:115], v[30:31]
	v_mul_f64 v[112:113], v[140:141], s[20:21]
	v_mul_f64 v[114:115], v[74:75], s[12:13]
	v_add_f64 v[86:87], v[54:55], v[94:95]
	s_waitcnt vmcnt(5)
	v_mul_f64 v[152:153], v[32:33], v[116:117]
	s_waitcnt vmcnt(4)
	v_mul_f64 v[154:155], v[48:49], v[120:121]
	;; [unrolled: 2-line block ×4, first 2 shown]
	v_mul_f64 v[96:97], v[100:101], s[16:17]
	v_fma_f64 v[142:143], v[50:51], s[6:7], v[46:47]
	v_fma_f64 v[70:71], v[70:71], s[16:17], v[92:93]
	v_add_f64 v[84:85], v[26:27], v[102:103]
	v_fma_f64 v[26:27], v[34:35], s[6:7], v[112:113]
	v_fma_f64 v[50:51], v[50:51], s[10:11], -v[114:115]
	v_fma_f64 v[92:93], v[88:89], s[18:19], -v[92:93]
	;; [unrolled: 1-line block ×4, first 2 shown]
	v_fma_f64 v[74:75], v[94:95], s[4:5], v[86:87]
	s_waitcnt vmcnt(1)
	v_mul_f64 v[160:161], v[28:29], v[132:133]
	s_waitcnt vmcnt(0)
	v_mul_f64 v[162:163], v[36:37], v[136:137]
	v_fma_f64 v[58:59], v[64:65], v[118:119], v[152:153]
	v_fma_f64 v[62:63], v[68:69], v[122:123], v[154:155]
	;; [unrolled: 1-line block ×3, first 2 shown]
	v_mul_f64 v[140:141], v[42:43], s[12:13]
	v_fma_f64 v[54:55], v[100:101], s[16:17], v[98:99]
	v_fma_f64 v[98:99], v[90:91], s[18:19], -v[98:99]
	v_fma_f64 v[100:101], v[102:103], s[4:5], v[84:85]
	v_fma_f64 v[42:43], v[42:43], s[12:13], -v[112:113]
	v_fma_f64 v[112:113], v[30:31], s[2:3], v[26:27]
	v_fma_f64 v[26:27], v[38:39], s[2:3], v[50:51]
	v_add_f64 v[50:51], v[70:71], v[74:75]
	v_add_f64 v[70:71], v[92:93], v[74:75]
	;; [unrolled: 1-line block ×3, first 2 shown]
	v_fma_f64 v[78:79], v[90:91], s[22:23], -v[96:97]
	v_fma_f64 v[96:97], v[72:73], v[130:131], v[158:159]
	v_fma_f64 v[34:35], v[34:35], s[10:11], -v[140:141]
	v_fma_f64 v[102:103], v[38:39], s[2:3], v[142:143]
	v_add_f64 v[54:55], v[54:55], v[100:101]
	v_add_f64 v[98:99], v[98:99], v[100:101]
	v_fma_f64 v[114:115], v[56:57], v[134:135], v[160:161]
	v_fma_f64 v[140:141], v[76:77], v[138:139], v[162:163]
	v_add_f64 v[78:79], v[78:79], v[100:101]
	v_add_f64 v[100:101], v[58:59], -v[62:63]
	v_add_f64 v[142:143], v[66:67], -v[96:97]
	v_mul_f64 v[40:41], v[40:41], v[126:127]
	v_mul_f64 v[44:45], v[44:45], v[130:131]
	;; [unrolled: 1-line block ×4, first 2 shown]
	v_fma_f64 v[34:35], v[30:31], s[2:3], v[34:35]
	v_fma_f64 v[46:47], v[38:39], s[2:3], v[46:47]
	;; [unrolled: 1-line block ×3, first 2 shown]
	v_mul_f64 v[42:43], v[48:49], v[122:123]
	v_mul_f64 v[32:33], v[32:33], v[118:119]
	v_add_f64 v[48:49], v[114:115], -v[140:141]
	v_add_f64 v[118:119], v[100:101], -v[142:143]
	v_fma_f64 v[60:61], v[60:61], v[124:125], -v[40:41]
	v_fma_f64 v[44:45], v[72:73], v[128:129], -v[44:45]
	;; [unrolled: 1-line block ×4, first 2 shown]
	v_add_f64 v[38:39], v[74:75], -v[46:47]
	v_fma_f64 v[68:69], v[68:69], v[120:121], -v[42:43]
	v_fma_f64 v[32:33], v[64:65], v[116:117], -v[32:33]
	v_add_f64 v[42:43], v[46:47], v[74:75]
	v_add_f64 v[64:65], v[100:101], v[142:143]
	v_mul_f64 v[72:73], v[118:119], s[20:21]
	v_add_f64 v[74:75], v[48:49], -v[100:101]
	v_add_f64 v[76:77], v[60:61], v[44:45]
	v_add_f64 v[100:101], v[28:29], v[56:57]
	;; [unrolled: 1-line block ×7, first 2 shown]
	v_add_f64 v[40:41], v[78:79], -v[30:31]
	v_add_f64 v[46:47], v[70:71], -v[26:27]
	v_add_f64 v[30:31], v[64:65], v[48:49]
	v_fma_f64 v[26:27], v[74:75], s[6:7], v[72:73]
	v_add_f64 v[64:65], v[76:77], v[100:101]
	v_add_f64 v[58:59], v[58:59], v[62:63]
	v_add_f64 v[62:63], v[66:67], v[96:97]
	v_add_f64 v[32:33], v[32:33], -v[68:69]
	v_add_f64 v[60:61], v[60:61], -v[44:45]
	;; [unrolled: 1-line block ×4, first 2 shown]
	v_fma_f64 v[68:69], v[30:31], s[2:3], v[26:27]
	v_add_f64 v[64:65], v[116:117], v[64:65]
	v_add_f64 v[26:27], v[96:97], -v[58:59]
	v_add_f64 v[62:63], v[58:59], v[62:63]
	v_add_f64 v[44:45], v[34:35], v[98:99]
	v_add_f64 v[98:99], v[32:33], -v[60:61]
	v_add_f64 v[70:71], v[116:117], -v[76:77]
	;; [unrolled: 1-line block ×4, first 2 shown]
	v_add_f64 v[28:29], v[52:53], v[64:65]
	v_add_f64 v[52:53], v[58:59], -v[66:67]
	v_mul_f64 v[58:59], v[26:27], s[24:25]
	v_add_f64 v[26:27], v[24:25], v[62:63]
	v_add_f64 v[24:25], v[32:33], v[60:61]
	v_add_f64 v[60:61], v[60:61], -v[56:57]
	v_mul_f64 v[98:99], v[98:99], s[20:21]
	v_add_f64 v[32:33], v[56:57], -v[32:33]
	v_add_f64 v[66:67], v[66:67], -v[96:97]
	v_mul_f64 v[78:79], v[70:71], s[16:17]
	v_fma_f64 v[114:115], v[52:53], s[16:17], v[58:59]
	v_mul_f64 v[52:53], v[52:53], s[16:17]
	v_mul_f64 v[34:35], v[34:35], s[24:25]
	;; [unrolled: 1-line block ×3, first 2 shown]
	v_fma_f64 v[62:63], v[62:63], s[4:5], v[26:27]
	v_add_f64 v[24:25], v[24:25], v[56:57]
	v_fma_f64 v[56:57], v[32:33], s[6:7], v[98:99]
	v_mul_f64 v[116:117], v[48:49], s[12:13]
	v_add_f64 v[76:77], v[76:77], -v[100:101]
	v_fma_f64 v[60:61], v[60:61], s[12:13], -v[98:99]
	v_fma_f64 v[52:53], v[66:67], s[22:23], -v[52:53]
	;; [unrolled: 1-line block ×3, first 2 shown]
	v_fma_f64 v[70:71], v[70:71], s[16:17], v[34:35]
	v_fma_f64 v[64:65], v[64:65], s[4:5], v[28:29]
	v_add_f64 v[100:101], v[114:115], v[62:63]
	v_fma_f64 v[114:115], v[24:25], s[2:3], v[56:57]
	v_fma_f64 v[56:57], v[74:75], s[10:11], -v[116:117]
	v_fma_f64 v[34:35], v[76:77], s[18:19], -v[34:35]
	;; [unrolled: 1-line block ×4, first 2 shown]
	v_fma_f64 v[78:79], v[24:25], s[2:3], v[32:33]
	v_fma_f64 v[24:25], v[24:25], s[2:3], v[60:61]
	v_add_f64 v[60:61], v[52:53], v[62:63]
	v_add_f64 v[70:71], v[70:71], v[64:65]
	v_fma_f64 v[58:59], v[66:67], s[18:19], -v[58:59]
	v_fma_f64 v[66:67], v[30:31], s[2:3], v[56:57]
	v_add_f64 v[72:73], v[34:35], v[64:65]
	v_add_f64 v[64:65], v[74:75], v[64:65]
	v_fma_f64 v[30:31], v[30:31], s[2:3], v[48:49]
	v_add_f64 v[88:89], v[54:55], -v[112:113]
	v_add_f64 v[32:33], v[24:25], v[60:61]
	v_add_f64 v[60:61], v[60:61], -v[24:25]
	v_lshlrev_b64 v[24:25], 4, v[108:109]
	v_add_f64 v[76:77], v[58:59], v[62:63]
	v_add_f64 v[48:49], v[112:113], v[54:55]
	v_add_f64 v[54:55], v[68:69], v[70:71]
	v_add_f64 v[34:35], v[64:65], -v[30:31]
	v_add_f64 v[62:63], v[30:31], v[64:65]
	v_mov_b32_e32 v30, s15
	v_add_co_u32_e32 v31, vcc, s14, v24
	v_add_f64 v[70:71], v[70:71], -v[68:69]
	v_add_f64 v[68:69], v[114:115], v[100:101]
	v_addc_co_u32_e32 v30, vcc, v30, v25, vcc
	v_lshlrev_b64 v[24:25], 4, v[104:105]
	s_movk_i32 s14, 0x1000
	v_add_co_u32_e32 v31, vcc, v31, v24
	v_addc_co_u32_e32 v30, vcc, v30, v25, vcc
	v_lshlrev_b64 v[24:25], 4, v[106:107]
	v_add_f64 v[58:59], v[66:67], v[72:73]
	v_add_co_u32_e32 v24, vcc, v31, v24
	v_addc_co_u32_e32 v25, vcc, v30, v25, vcc
	v_add_f64 v[56:57], v[76:77], -v[78:79]
	global_store_dwordx4 v[24:25], v[26:29], off
	global_store_dwordx4 v[24:25], v[68:71], off offset:4080
	v_add_co_u32_e32 v26, vcc, s14, v24
	v_addc_co_u32_e32 v27, vcc, 0, v25, vcc
	s_movk_i32 s14, 0x2000
	v_add_co_u32_e32 v28, vcc, s14, v24
	v_addc_co_u32_e32 v29, vcc, 0, v25, vcc
	s_movk_i32 s15, 0x3000
	v_add_f64 v[52:53], v[100:101], -v[114:115]
	v_add_co_u32_e32 v30, vcc, s15, v24
	v_addc_co_u32_e32 v31, vcc, 0, v25, vcc
	global_store_dwordx4 v[30:31], v[32:35], off offset:4032
	v_add_f64 v[66:67], v[72:73], -v[66:67]
	v_add_co_u32_e32 v32, vcc, s26, v24
	v_addc_co_u32_e32 v33, vcc, 0, v25, vcc
	global_store_dwordx4 v[32:33], v[56:59], off offset:4016
	v_add_co_u32_e32 v34, vcc, s27, v24
	v_mul_hi_u32 v56, v111, s28
	v_addc_co_u32_e32 v35, vcc, 0, v25, vcc
	v_add_f64 v[64:65], v[78:79], v[76:77]
	global_store_dwordx4 v[34:35], v[52:55], off offset:4000
	v_lshrrev_b32_e32 v34, 7, v56
	v_add_f64 v[90:91], v[102:103], v[50:51]
	v_add_f64 v[50:51], v[50:51], -v[102:103]
	v_mul_u32_u24_e32 v34, 0x5fa, v34
	v_mov_b32_e32 v35, v107
	v_lshlrev_b64 v[34:35], 4, v[34:35]
	s_movk_i32 s27, 0x770
	v_add_co_u32_e32 v34, vcc, v24, v34
	v_addc_co_u32_e32 v35, vcc, v25, v35, vcc
	v_add_co_u32_e32 v52, vcc, s27, v34
	v_addc_co_u32_e32 v53, vcc, 0, v35, vcc
	global_store_dwordx4 v[26:27], v[64:67], off offset:4064
	global_store_dwordx4 v[28:29], v[60:63], off offset:4048
	;; [unrolled: 1-line block ×4, first 2 shown]
	s_nop 0
	v_add_co_u32_e32 v48, vcc, s14, v34
	v_addc_co_u32_e32 v49, vcc, 0, v35, vcc
	global_store_dwordx4 v[48:49], v[44:47], off offset:1872
	s_nop 0
	v_add_co_u32_e32 v44, vcc, s15, v34
	v_addc_co_u32_e32 v45, vcc, 0, v35, vcc
	global_store_dwordx4 v[44:45], v[40:43], off offset:1856
	;; [unrolled: 4-line block ×3, first 2 shown]
	s_nop 0
	v_add_co_u32_e32 v36, vcc, 0x5000, v34
	v_addc_co_u32_e32 v37, vcc, 0, v35, vcc
	v_add_co_u32_e32 v34, vcc, 0x6000, v34
	v_addc_co_u32_e32 v35, vcc, 0, v35, vcc
	global_store_dwordx4 v[36:37], v[92:95], off offset:1824
	global_store_dwordx4 v[34:35], v[88:91], off offset:1808
	s_and_b64 exec, exec, s[0:1]
	s_cbranch_execz .LBB0_22
; %bb.21:
	v_subrev_u32_e32 v34, 17, v106
	v_cndmask_b32_e64 v34, v34, v110, s[0:1]
	v_mul_i32_i24_e32 v106, 6, v34
	v_lshlrev_b64 v[34:35], 4, v[106:107]
	v_mov_b32_e32 v36, s9
	v_add_co_u32_e32 v58, vcc, s8, v34
	v_addc_co_u32_e32 v59, vcc, v36, v35, vcc
	global_load_dwordx4 v[34:37], v[58:59], off offset:3808
	global_load_dwordx4 v[38:41], v[58:59], off offset:3824
	;; [unrolled: 1-line block ×6, first 2 shown]
	v_add_co_u32_e32 v58, vcc, 0x5000, v24
	v_addc_co_u32_e32 v59, vcc, 0, v25, vcc
	s_waitcnt vmcnt(5)
	v_mul_f64 v[60:61], v[10:11], v[36:37]
	v_mul_f64 v[36:37], v[2:3], v[36:37]
	s_waitcnt vmcnt(4)
	v_mul_f64 v[62:63], v[12:13], v[40:41]
	v_mul_f64 v[40:41], v[4:5], v[40:41]
	;; [unrolled: 3-line block ×4, first 2 shown]
	v_mul_f64 v[64:65], v[14:15], v[44:45]
	v_mul_f64 v[44:45], v[6:7], v[44:45]
	;; [unrolled: 1-line block ×4, first 2 shown]
	v_fma_f64 v[2:3], v[2:3], v[34:35], v[60:61]
	v_fma_f64 v[10:11], v[10:11], v[34:35], -v[36:37]
	v_fma_f64 v[4:5], v[4:5], v[38:39], v[62:63]
	v_fma_f64 v[12:13], v[12:13], v[38:39], -v[40:41]
	;; [unrolled: 2-line block ×6, first 2 shown]
	v_add_f64 v[38:39], v[2:3], v[34:35]
	v_add_f64 v[40:41], v[10:11], v[36:37]
	v_add_f64 v[2:3], v[2:3], -v[34:35]
	v_add_f64 v[10:11], v[10:11], -v[36:37]
	v_add_f64 v[34:35], v[4:5], v[18:19]
	v_add_f64 v[36:37], v[12:13], v[22:23]
	v_add_f64 v[4:5], v[4:5], -v[18:19]
	v_add_f64 v[12:13], v[12:13], -v[22:23]
	;; [unrolled: 4-line block ×4, first 2 shown]
	v_add_f64 v[38:39], v[38:39], -v[18:19]
	v_add_f64 v[40:41], v[40:41], -v[22:23]
	;; [unrolled: 1-line block ×4, first 2 shown]
	v_add_f64 v[46:47], v[6:7], v[4:5]
	v_add_f64 v[48:49], v[14:15], v[12:13]
	v_add_f64 v[50:51], v[6:7], -v[4:5]
	v_add_f64 v[52:53], v[14:15], -v[12:13]
	v_add_f64 v[16:17], v[18:19], v[16:17]
	v_add_f64 v[18:19], v[22:23], v[20:21]
	v_add_f64 v[4:5], v[4:5], -v[2:3]
	v_add_f64 v[12:13], v[12:13], -v[10:11]
	v_add_f64 v[6:7], v[2:3], -v[6:7]
	v_add_f64 v[14:15], v[10:11], -v[14:15]
	v_add_f64 v[20:21], v[46:47], v[2:3]
	v_add_f64 v[10:11], v[48:49], v[10:11]
	v_mul_f64 v[22:23], v[38:39], s[24:25]
	v_mul_f64 v[38:39], v[40:41], s[24:25]
	;; [unrolled: 1-line block ×6, first 2 shown]
	v_add_f64 v[0:1], v[0:1], v[16:17]
	v_add_f64 v[2:3], v[8:9], v[18:19]
	v_mul_f64 v[52:53], v[4:5], s[12:13]
	v_mul_f64 v[54:55], v[12:13], s[12:13]
	v_fma_f64 v[8:9], v[34:35], s[16:17], v[22:23]
	v_fma_f64 v[34:35], v[36:37], s[16:17], v[38:39]
	v_fma_f64 v[36:37], v[42:43], s[22:23], -v[40:41]
	v_fma_f64 v[40:41], v[44:45], s[22:23], -v[46:47]
	;; [unrolled: 1-line block ×4, first 2 shown]
	v_fma_f64 v[42:43], v[6:7], s[6:7], v[48:49]
	v_fma_f64 v[44:45], v[14:15], s[6:7], v[50:51]
	;; [unrolled: 1-line block ×4, first 2 shown]
	v_fma_f64 v[4:5], v[4:5], s[12:13], -v[48:49]
	v_fma_f64 v[6:7], v[6:7], s[10:11], -v[52:53]
	;; [unrolled: 1-line block ×4, first 2 shown]
	v_fma_f64 v[42:43], v[20:21], s[2:3], v[42:43]
	v_fma_f64 v[44:45], v[10:11], s[2:3], v[44:45]
	v_add_f64 v[52:53], v[8:9], v[16:17]
	v_add_f64 v[54:55], v[34:35], v[18:19]
	v_fma_f64 v[46:47], v[20:21], s[2:3], v[4:5]
	v_fma_f64 v[50:51], v[20:21], s[2:3], v[6:7]
	;; [unrolled: 1-line block ×3, first 2 shown]
	v_add_f64 v[22:23], v[22:23], v[16:17]
	v_add_f64 v[34:35], v[38:39], v[18:19]
	v_fma_f64 v[48:49], v[10:11], s[2:3], v[12:13]
	v_add_f64 v[16:17], v[36:37], v[16:17]
	v_add_f64 v[18:19], v[40:41], v[18:19]
	;; [unrolled: 1-line block ×3, first 2 shown]
	v_add_f64 v[6:7], v[54:55], -v[42:43]
	v_add_f64 v[36:37], v[42:43], v[54:55]
	v_add_f64 v[8:9], v[20:21], v[22:23]
	v_add_f64 v[10:11], v[34:35], -v[50:51]
	v_add_f64 v[20:21], v[22:23], -v[20:21]
	;; [unrolled: 1-line block ×3, first 2 shown]
	v_add_f64 v[14:15], v[46:47], v[18:19]
	v_add_f64 v[16:17], v[48:49], v[16:17]
	v_add_f64 v[18:19], v[18:19], -v[46:47]
	v_add_f64 v[22:23], v[50:51], v[34:35]
	v_add_f64 v[34:35], v[52:53], -v[44:45]
	v_add_co_u32_e32 v38, vcc, 0x6000, v24
	v_addc_co_u32_e32 v39, vcc, 0, v25, vcc
	global_store_dwordx4 v[24:25], v[0:3], off offset:3808
	global_store_dwordx4 v[26:27], v[4:7], off offset:3792
	global_store_dwordx4 v[28:29], v[8:11], off offset:3776
	global_store_dwordx4 v[30:31], v[12:15], off offset:3760
	global_store_dwordx4 v[32:33], v[16:19], off offset:3744
	global_store_dwordx4 v[58:59], v[20:23], off offset:3728
	global_store_dwordx4 v[38:39], v[34:37], off offset:3712
.LBB0_22:
	s_endpgm
	.section	.rodata,"a",@progbits
	.p2align	6, 0x0
	.amdhsa_kernel fft_rtc_back_len1785_factors_17_3_5_7_wgs_119_tpt_119_halfLds_dp_op_CI_CI_unitstride_sbrr_dirReg
		.amdhsa_group_segment_fixed_size 0
		.amdhsa_private_segment_fixed_size 0
		.amdhsa_kernarg_size 104
		.amdhsa_user_sgpr_count 6
		.amdhsa_user_sgpr_private_segment_buffer 1
		.amdhsa_user_sgpr_dispatch_ptr 0
		.amdhsa_user_sgpr_queue_ptr 0
		.amdhsa_user_sgpr_kernarg_segment_ptr 1
		.amdhsa_user_sgpr_dispatch_id 0
		.amdhsa_user_sgpr_flat_scratch_init 0
		.amdhsa_user_sgpr_private_segment_size 0
		.amdhsa_uses_dynamic_stack 0
		.amdhsa_system_sgpr_private_segment_wavefront_offset 0
		.amdhsa_system_sgpr_workgroup_id_x 1
		.amdhsa_system_sgpr_workgroup_id_y 0
		.amdhsa_system_sgpr_workgroup_id_z 0
		.amdhsa_system_sgpr_workgroup_info 0
		.amdhsa_system_vgpr_workitem_id 0
		.amdhsa_next_free_vgpr 220
		.amdhsa_next_free_sgpr 60
		.amdhsa_reserve_vcc 1
		.amdhsa_reserve_flat_scratch 0
		.amdhsa_float_round_mode_32 0
		.amdhsa_float_round_mode_16_64 0
		.amdhsa_float_denorm_mode_32 3
		.amdhsa_float_denorm_mode_16_64 3
		.amdhsa_dx10_clamp 1
		.amdhsa_ieee_mode 1
		.amdhsa_fp16_overflow 0
		.amdhsa_exception_fp_ieee_invalid_op 0
		.amdhsa_exception_fp_denorm_src 0
		.amdhsa_exception_fp_ieee_div_zero 0
		.amdhsa_exception_fp_ieee_overflow 0
		.amdhsa_exception_fp_ieee_underflow 0
		.amdhsa_exception_fp_ieee_inexact 0
		.amdhsa_exception_int_div_zero 0
	.end_amdhsa_kernel
	.text
.Lfunc_end0:
	.size	fft_rtc_back_len1785_factors_17_3_5_7_wgs_119_tpt_119_halfLds_dp_op_CI_CI_unitstride_sbrr_dirReg, .Lfunc_end0-fft_rtc_back_len1785_factors_17_3_5_7_wgs_119_tpt_119_halfLds_dp_op_CI_CI_unitstride_sbrr_dirReg
                                        ; -- End function
	.section	.AMDGPU.csdata,"",@progbits
; Kernel info:
; codeLenInByte = 16096
; NumSgprs: 64
; NumVgprs: 220
; ScratchSize: 0
; MemoryBound: 1
; FloatMode: 240
; IeeeMode: 1
; LDSByteSize: 0 bytes/workgroup (compile time only)
; SGPRBlocks: 7
; VGPRBlocks: 54
; NumSGPRsForWavesPerEU: 64
; NumVGPRsForWavesPerEU: 220
; Occupancy: 1
; WaveLimiterHint : 1
; COMPUTE_PGM_RSRC2:SCRATCH_EN: 0
; COMPUTE_PGM_RSRC2:USER_SGPR: 6
; COMPUTE_PGM_RSRC2:TRAP_HANDLER: 0
; COMPUTE_PGM_RSRC2:TGID_X_EN: 1
; COMPUTE_PGM_RSRC2:TGID_Y_EN: 0
; COMPUTE_PGM_RSRC2:TGID_Z_EN: 0
; COMPUTE_PGM_RSRC2:TIDIG_COMP_CNT: 0
	.type	__hip_cuid_8210389de80a2715,@object ; @__hip_cuid_8210389de80a2715
	.section	.bss,"aw",@nobits
	.globl	__hip_cuid_8210389de80a2715
__hip_cuid_8210389de80a2715:
	.byte	0                               ; 0x0
	.size	__hip_cuid_8210389de80a2715, 1

	.ident	"AMD clang version 19.0.0git (https://github.com/RadeonOpenCompute/llvm-project roc-6.4.0 25133 c7fe45cf4b819c5991fe208aaa96edf142730f1d)"
	.section	".note.GNU-stack","",@progbits
	.addrsig
	.addrsig_sym __hip_cuid_8210389de80a2715
	.amdgpu_metadata
---
amdhsa.kernels:
  - .args:
      - .actual_access:  read_only
        .address_space:  global
        .offset:         0
        .size:           8
        .value_kind:     global_buffer
      - .offset:         8
        .size:           8
        .value_kind:     by_value
      - .actual_access:  read_only
        .address_space:  global
        .offset:         16
        .size:           8
        .value_kind:     global_buffer
      - .actual_access:  read_only
        .address_space:  global
        .offset:         24
        .size:           8
        .value_kind:     global_buffer
      - .actual_access:  read_only
        .address_space:  global
        .offset:         32
        .size:           8
        .value_kind:     global_buffer
      - .offset:         40
        .size:           8
        .value_kind:     by_value
      - .actual_access:  read_only
        .address_space:  global
        .offset:         48
        .size:           8
        .value_kind:     global_buffer
      - .actual_access:  read_only
        .address_space:  global
        .offset:         56
        .size:           8
        .value_kind:     global_buffer
      - .offset:         64
        .size:           4
        .value_kind:     by_value
      - .actual_access:  read_only
        .address_space:  global
        .offset:         72
        .size:           8
        .value_kind:     global_buffer
      - .actual_access:  read_only
        .address_space:  global
        .offset:         80
        .size:           8
        .value_kind:     global_buffer
      - .actual_access:  read_only
        .address_space:  global
        .offset:         88
        .size:           8
        .value_kind:     global_buffer
      - .actual_access:  write_only
        .address_space:  global
        .offset:         96
        .size:           8
        .value_kind:     global_buffer
    .group_segment_fixed_size: 0
    .kernarg_segment_align: 8
    .kernarg_segment_size: 104
    .language:       OpenCL C
    .language_version:
      - 2
      - 0
    .max_flat_workgroup_size: 119
    .name:           fft_rtc_back_len1785_factors_17_3_5_7_wgs_119_tpt_119_halfLds_dp_op_CI_CI_unitstride_sbrr_dirReg
    .private_segment_fixed_size: 0
    .sgpr_count:     64
    .sgpr_spill_count: 0
    .symbol:         fft_rtc_back_len1785_factors_17_3_5_7_wgs_119_tpt_119_halfLds_dp_op_CI_CI_unitstride_sbrr_dirReg.kd
    .uniform_work_group_size: 1
    .uses_dynamic_stack: false
    .vgpr_count:     220
    .vgpr_spill_count: 0
    .wavefront_size: 64
amdhsa.target:   amdgcn-amd-amdhsa--gfx906
amdhsa.version:
  - 1
  - 2
...

	.end_amdgpu_metadata
